;; amdgpu-corpus repo=pytorch/pytorch kind=compiled arch=gfx950 opt=O3
	.amdgcn_target "amdgcn-amd-amdhsa--gfx950"
	.amdhsa_code_object_version 6
	.text
	.p2align	2                               ; -- Begin function _ZN2at6native25elementwise_kernel_helperILb0EZZZNS0_12_GLOBAL__N_121bessel_y1_kernel_cudaERNS_18TensorIteratorBaseEENKUlvE_clEvENKUlvE_clEvEUldE_NS0_6memory8policies11unroll_baseILi256ESt5arrayIPcLm2EE23TrivialOffsetCalculatorILi1EjESF_NS8_15LoadWithoutCastENS8_16StoreWithoutCastELi4ELi1EEEEEvT0_T1_
	.type	_ZN2at6native25elementwise_kernel_helperILb0EZZZNS0_12_GLOBAL__N_121bessel_y1_kernel_cudaERNS_18TensorIteratorBaseEENKUlvE_clEvENKUlvE_clEvEUldE_NS0_6memory8policies11unroll_baseILi256ESt5arrayIPcLm2EE23TrivialOffsetCalculatorILi1EjESF_NS8_15LoadWithoutCastENS8_16StoreWithoutCastELi4ELi1EEEEEvT0_T1_,@function
_ZN2at6native25elementwise_kernel_helperILb0EZZZNS0_12_GLOBAL__N_121bessel_y1_kernel_cudaERNS_18TensorIteratorBaseEENKUlvE_clEvENKUlvE_clEvEUldE_NS0_6memory8policies11unroll_baseILi256ESt5arrayIPcLm2EE23TrivialOffsetCalculatorILi1EjESF_NS8_15LoadWithoutCastENS8_16StoreWithoutCastELi4ELi1EEEEEvT0_T1_: ; @_ZN2at6native25elementwise_kernel_helperILb0EZZZNS0_12_GLOBAL__N_121bessel_y1_kernel_cudaERNS_18TensorIteratorBaseEENKUlvE_clEvENKUlvE_clEvEUldE_NS0_6memory8policies11unroll_baseILi256ESt5arrayIPcLm2EE23TrivialOffsetCalculatorILi1EjESF_NS8_15LoadWithoutCastENS8_16StoreWithoutCastELi4ELi1EEEEEvT0_T1_
; %bb.0:
	s_waitcnt vmcnt(0) expcnt(0) lgkmcnt(0)
	v_and_b32_e32 v5, 0x3ff, v31
	s_lshl_b32 s16, s12, 10
	v_cmp_lt_i32_e64 s[0:1], v5, v4
	v_mov_b64_e32 v[18:19], 0
	v_or_b32_e32 v6, s16, v5
	v_mov_b64_e32 v[20:21], 0
	v_mov_b32_e32 v7, v5
	s_and_saveexec_b64 s[2:3], s[0:1]
	s_cbranch_execz .LBB0_2
; %bb.1:
	v_mov_b32_e32 v7, 0
	v_lshl_add_u64 v[8:9], v[6:7], 3, v[2:3]
	flat_load_dwordx2 v[20:21], v[8:9]
	v_add_u32_e32 v7, 0x100, v5
.LBB0_2:
	s_or_b64 exec, exec, s[2:3]
	v_cmp_lt_i32_e32 vcc, v7, v4
	s_and_saveexec_b64 s[2:3], vcc
	s_cbranch_execz .LBB0_4
; %bb.3:
	v_add_u32_e32 v8, s16, v7
	v_mov_b32_e32 v9, 0
	v_lshl_add_u64 v[8:9], v[8:9], 3, v[2:3]
	flat_load_dwordx2 v[18:19], v[8:9]
	v_add_u32_e32 v7, 0x100, v7
.LBB0_4:
	s_or_b64 exec, exec, s[2:3]
	v_cmp_lt_i32_e32 vcc, v7, v4
	v_mov_b64_e32 v[8:9], 0
	v_mov_b64_e32 v[10:11], 0
	s_and_saveexec_b64 s[2:3], vcc
	s_cbranch_execz .LBB0_6
; %bb.5:
	v_add_u32_e32 v10, s16, v7
	v_mov_b32_e32 v11, 0
	v_lshl_add_u64 v[10:11], v[10:11], 3, v[2:3]
	flat_load_dwordx2 v[10:11], v[10:11]
	v_add_u32_e32 v7, 0x100, v7
.LBB0_6:
	s_or_b64 exec, exec, s[2:3]
	v_cmp_lt_i32_e32 vcc, v7, v4
	s_and_saveexec_b64 s[2:3], vcc
	s_cbranch_execz .LBB0_8
; %bb.7:
	v_add_u32_e32 v8, s16, v7
	v_mov_b32_e32 v9, 0
	v_lshl_add_u64 v[2:3], v[8:9], 3, v[2:3]
	flat_load_dwordx2 v[8:9], v[2:3]
.LBB0_8:
	s_or_b64 exec, exec, s[2:3]
	v_mov_b32_e32 v2, 0
	v_mov_b32_e32 v3, v2
	;; [unrolled: 1-line block ×8, first 2 shown]
	s_and_saveexec_b64 s[4:5], s[0:1]
	s_cbranch_execz .LBB0_26
; %bb.9:
	s_mov_b32 s2, 0
	s_mov_b32 s3, 0x40140000
	s_waitcnt vmcnt(0) lgkmcnt(0)
	v_cmp_ge_f64_e32 vcc, s[2:3], v[20:21]
                                        ; implicit-def: $vgpr2_vgpr3
	s_and_saveexec_b64 s[2:3], vcc
	s_xor_b64 s[2:3], exec, s[2:3]
	s_cbranch_execz .LBB0_15
; %bb.10:
	v_mov_b32_e32 v2, 0
	v_cmp_neq_f64_e32 vcc, 0, v[20:21]
	v_mov_b32_e32 v3, 0xfff00000
	s_and_saveexec_b64 s[6:7], vcc
	s_cbranch_execz .LBB0_14
; %bb.11:
	v_mov_b32_e32 v2, 0
	v_cmp_nge_f64_e32 vcc, 0, v[20:21]
	v_mov_b32_e32 v3, 0x7ff80000
	s_and_saveexec_b64 s[8:9], vcc
	s_cbranch_execz .LBB0_13
; %bb.12:
	v_mul_f64 v[2:3], v[20:21], v[20:21]
	v_mov_b32_e32 v12, 0x62f9b6c5
	v_mov_b32_e32 v13, 0x41d2d2be
	v_fmac_f64_e32 v[12:13], 0, v[2:3]
	v_mov_b32_e32 v14, 0x58836521
	v_mov_b32_e32 v15, 0xc262d72d
	v_fmac_f64_e32 v[14:15], v[2:3], v[12:13]
	;; [unrolled: 3-line block ×14, first 2 shown]
	v_div_scale_f64 v[12:13], s[10:11], v[16:17], v[16:17], v[14:15]
	v_rcp_f64_e32 v[22:23], v[12:13]
	v_mov_b32_e32 v28, 0xd438c6b
	v_mov_b32_e32 v29, 0x425a52ba
	;; [unrolled: 1-line block ×3, first 2 shown]
	v_fma_f64 v[24:25], -v[12:13], v[22:23], 1.0
	v_fmac_f64_e32 v[22:23], v[22:23], v[24:25]
	v_fma_f64 v[24:25], -v[12:13], v[22:23], 1.0
	v_fmac_f64_e32 v[22:23], v[22:23], v[24:25]
	v_div_scale_f64 v[24:25], vcc, v[14:15], v[16:17], v[14:15]
	v_mul_f64 v[26:27], v[24:25], v[22:23]
	v_fma_f64 v[12:13], -v[12:13], v[26:27], v[24:25]
	v_mov_b32_e32 v24, 0x4cda4fc5
	v_mov_b32_e32 v25, 0xc1cad23c
	v_fmac_f64_e32 v[24:25], 0, v[2:3]
	v_fmac_f64_e32 v[28:29], v[2:3], v[24:25]
	v_mov_b32_e32 v24, 0xe6ccf175
	v_mov_b32_e32 v25, 0xc2d08a92
	v_fmac_f64_e32 v[24:25], v[2:3], v[28:29]
	v_mov_b32_e32 v28, 0x1b7086e7
	v_mov_b32_e32 v29, 0x408366b1
	v_fmac_f64_e32 v[28:29], 0, v[2:3]
	v_mov_b32_e32 v31, 0x410f5eda
	v_fmac_f64_e32 v[30:31], v[2:3], v[28:29]
	v_mov_b32_e32 v28, 0xdc92a1b1
	v_mov_b32_e32 v29, 0x4193e954
	v_fmac_f64_e32 v[28:29], v[2:3], v[30:31]
	v_mov_b32_e32 v30, 0x7befeac1
	;; [unrolled: 3-line block ×7, first 2 shown]
	v_mov_b32_e32 v29, 0x432a2b42
	v_fmac_f64_e32 v[28:29], v[2:3], v[24:25]
	v_div_scale_f64 v[2:3], s[10:11], v[30:31], v[30:31], v[28:29]
	v_rcp_f64_e32 v[24:25], v[2:3]
	v_div_fmas_f64 v[12:13], v[12:13], v[22:23], v[26:27]
	v_div_fixup_f64 v[12:13], v[12:13], v[16:17], v[14:15]
	s_mov_b32 s10, 0x55555555
	v_fma_f64 v[14:15], -v[2:3], v[24:25], 1.0
	v_fmac_f64_e32 v[24:25], v[24:25], v[14:15]
	v_fma_f64 v[14:15], -v[2:3], v[24:25], 1.0
	v_fmac_f64_e32 v[24:25], v[24:25], v[14:15]
	v_div_scale_f64 v[14:15], vcc, v[28:29], v[30:31], v[28:29]
	v_mul_f64 v[16:17], v[14:15], v[24:25]
	v_fma_f64 v[2:3], -v[2:3], v[16:17], v[14:15]
	v_mov_b32_e32 v14, 0x4189822c
	s_nop 0
	v_div_fmas_f64 v[2:3], v[2:3], v[24:25], v[16:17]
	v_div_fixup_f64 v[2:3], v[2:3], v[30:31], v[28:29]
	v_mov_b32_e32 v15, 0xc02d5d2b
	v_mul_f64 v[2:3], v[20:21], v[2:3]
	v_fmac_f64_e32 v[14:15], v[20:21], v[20:21]
	v_mul_f64 v[2:3], v[14:15], v[2:3]
	v_mov_b32_e32 v14, 0x6072a432
	v_mov_b32_e32 v15, 0xc0489bf6
	v_fmac_f64_e32 v[14:15], v[20:21], v[20:21]
	v_mul_f64 v[2:3], v[14:15], v[2:3]
	v_frexp_mant_f64_e32 v[14:15], v[20:21]
	s_mov_b32 s11, 0x3fe55555
	v_cmp_gt_f64_e32 vcc, s[10:11], v[14:15]
	s_mov_b32 s10, 0xbf559e2b
	s_mov_b32 s11, 0x3fc3ab76
	v_cndmask_b32_e64 v16, 0, 1, vcc
	v_ldexp_f64 v[14:15], v[14:15], v16
	v_add_f64 v[16:17], v[14:15], 1.0
	v_rcp_f64_e32 v[22:23], v[16:17]
	v_add_f64 v[26:27], v[16:17], -1.0
	v_add_f64 v[24:25], v[14:15], -1.0
	v_add_f64 v[14:15], v[14:15], -v[26:27]
	v_fma_f64 v[26:27], -v[16:17], v[22:23], 1.0
	v_fmac_f64_e32 v[22:23], v[26:27], v[22:23]
	v_fma_f64 v[26:27], -v[16:17], v[22:23], 1.0
	v_fmac_f64_e32 v[22:23], v[26:27], v[22:23]
	v_mul_f64 v[26:27], v[24:25], v[22:23]
	v_mul_f64 v[28:29], v[16:17], v[26:27]
	v_fma_f64 v[16:17], v[26:27], v[16:17], -v[28:29]
	v_fmac_f64_e32 v[16:17], v[26:27], v[14:15]
	v_add_f64 v[14:15], v[28:29], v[16:17]
	v_add_f64 v[30:31], v[24:25], -v[14:15]
	v_add_f64 v[28:29], v[14:15], -v[28:29]
	;; [unrolled: 1-line block ×5, first 2 shown]
	v_add_f64 v[14:15], v[16:17], v[14:15]
	v_add_f64 v[14:15], v[30:31], v[14:15]
	v_mul_f64 v[14:15], v[22:23], v[14:15]
	v_add_f64 v[16:17], v[26:27], v[14:15]
	v_add_f64 v[22:23], v[16:17], -v[26:27]
	v_add_f64 v[14:15], v[14:15], -v[22:23]
	v_mul_f64 v[22:23], v[16:17], v[16:17]
	v_mov_b32_e32 v24, 0x6b47b09a
	v_mov_b32_e32 v25, 0x3fc38538
	v_fmac_f64_e32 v[24:25], s[10:11], v[22:23]
	v_mov_b32_e32 v26, 0xd7f4df2e
	v_mov_b32_e32 v27, 0x3fc7474d
	v_fmac_f64_e32 v[26:27], v[22:23], v[24:25]
	;; [unrolled: 3-line block ×6, first 2 shown]
	v_ldexp_f64 v[24:25], v[16:17], 1
	v_mul_f64 v[16:17], v[16:17], v[22:23]
	v_mul_f64 v[16:17], v[16:17], v[26:27]
	v_add_f64 v[22:23], v[24:25], v[16:17]
	v_add_f64 v[24:25], v[22:23], -v[24:25]
	v_ldexp_f64 v[14:15], v[14:15], 1
	v_add_f64 v[16:17], v[16:17], -v[24:25]
	v_add_f64 v[14:15], v[14:15], v[16:17]
	v_frexp_exp_i32_f64_e32 v7, v[20:21]
	v_add_f64 v[16:17], v[22:23], v[14:15]
	v_subbrev_co_u32_e32 v7, vcc, 0, v7, vcc
	v_add_f64 v[22:23], v[16:17], -v[22:23]
	s_mov_b32 s10, 0xfefa39ef
	v_add_f64 v[14:15], v[14:15], -v[22:23]
	v_cvt_f64_i32_e32 v[22:23], v7
	s_mov_b32 s11, 0x3fe62e42
	v_mul_f64 v[24:25], v[22:23], s[10:11]
	v_fma_f64 v[26:27], v[22:23], s[10:11], -v[24:25]
	s_mov_b32 s10, 0x3b39803f
	s_mov_b32 s11, 0x3c7abc9e
	v_fmac_f64_e32 v[26:27], s[10:11], v[22:23]
	v_add_f64 v[22:23], v[24:25], v[26:27]
	v_add_f64 v[24:25], v[22:23], -v[24:25]
	v_add_f64 v[24:25], v[26:27], -v[24:25]
	v_add_f64 v[26:27], v[22:23], v[16:17]
	v_add_f64 v[28:29], v[26:27], -v[22:23]
	v_add_f64 v[30:31], v[26:27], -v[28:29]
	;; [unrolled: 1-line block ×4, first 2 shown]
	v_add_f64 v[16:17], v[16:17], v[22:23]
	v_add_f64 v[22:23], v[24:25], v[14:15]
	v_add_f64 v[28:29], v[22:23], -v[24:25]
	v_add_f64 v[30:31], v[22:23], -v[28:29]
	v_add_f64 v[16:17], v[22:23], v[16:17]
	v_add_f64 v[24:25], v[24:25], -v[30:31]
	v_add_f64 v[14:15], v[14:15], -v[28:29]
	v_add_f64 v[22:23], v[26:27], v[16:17]
	v_add_f64 v[14:15], v[14:15], v[24:25]
	v_add_f64 v[24:25], v[22:23], -v[26:27]
	v_div_scale_f64 v[26:27], s[10:11], v[20:21], v[20:21], -1.0
	v_rcp_f64_e32 v[28:29], v[26:27]
	v_add_f64 v[16:17], v[16:17], -v[24:25]
	v_add_f64 v[14:15], v[14:15], v[16:17]
	v_add_f64 v[14:15], v[22:23], v[14:15]
	v_fma_f64 v[16:17], -v[26:27], v[28:29], 1.0
	v_fmac_f64_e32 v[28:29], v[28:29], v[16:17]
	v_fma_f64 v[16:17], -v[26:27], v[28:29], 1.0
	v_fmac_f64_e32 v[28:29], v[28:29], v[16:17]
	v_div_scale_f64 v[16:17], vcc, -1.0, v[20:21], -1.0
	v_mul_f64 v[22:23], v[16:17], v[28:29]
	v_fma_f64 v[16:17], -v[26:27], v[22:23], v[16:17]
	s_mov_b32 s10, 0x6dc9c883
	s_nop 0
	v_div_fmas_f64 v[16:17], v[16:17], v[28:29], v[22:23]
	v_div_fixup_f64 v[16:17], v[16:17], v[20:21], -1.0
	v_fmac_f64_e32 v[16:17], v[2:3], v[14:15]
	s_mov_b32 s11, 0x3fe45f30
	v_mul_f64 v[2:3], v[16:17], s[10:11]
	v_fmac_f64_e32 v[2:3], v[20:21], v[12:13]
.LBB0_13:
	s_or_b64 exec, exec, s[8:9]
.LBB0_14:
	s_or_b64 exec, exec, s[6:7]
                                        ; implicit-def: $vgpr20_vgpr21
.LBB0_15:
	s_andn2_saveexec_b64 s[6:7], s[2:3]
	s_cbranch_execz .LBB0_25
; %bb.16:
	s_mov_b32 s2, 0x7f3321d2
	s_mov_b32 s3, 0xc002d97c
	v_add_f64 v[2:3], v[20:21], s[2:3]
	s_mov_b32 s2, 0
	s_mov_b32 s3, 0x41d00000
	v_cmp_nlt_f64_e64 s[8:9], |v[2:3]|, s[2:3]
	v_trig_preop_f64 v[28:29], |v[2:3]|, 0
	v_trig_preop_f64 v[26:27], |v[2:3]|, 1
	v_trig_preop_f64 v[24:25], |v[2:3]|, 2
                                        ; implicit-def: $vgpr7
                                        ; implicit-def: $vgpr12_vgpr13
                                        ; implicit-def: $vgpr14_vgpr15
	s_and_saveexec_b64 s[2:3], s[8:9]
	s_xor_b64 s[10:11], exec, s[2:3]
	s_cbranch_execz .LBB0_18
; %bb.17:
	s_mov_b32 s2, 0
	s_mov_b32 s3, 0x7b000000
	s_movk_i32 s12, 0xff80
	v_and_b32_e32 v7, 0x7fffffff, v3
	v_ldexp_f64 v[12:13], |v[2:3]|, s12
	v_cmp_ge_f64_e64 vcc, |v[2:3]|, s[2:3]
	s_mov_b32 s2, 0
	s_mov_b32 s3, 0x7ff00000
	v_cndmask_b32_e32 v13, v7, v13, vcc
	v_cndmask_b32_e32 v12, v2, v12, vcc
	v_mul_f64 v[16:17], v[28:29], v[12:13]
	v_mul_f64 v[14:15], v[26:27], v[12:13]
	v_fma_f64 v[22:23], v[28:29], v[12:13], -v[16:17]
	v_add_f64 v[30:31], v[14:15], v[22:23]
	v_add_f64 v[38:39], v[30:31], -v[14:15]
	v_add_f64 v[22:23], v[22:23], -v[38:39]
	;; [unrolled: 1-line block ×4, first 2 shown]
	v_add_f64 v[22:23], v[22:23], v[38:39]
	v_fma_f64 v[14:15], v[26:27], v[12:13], -v[14:15]
	v_mul_f64 v[38:39], v[24:25], v[12:13]
	v_add_f64 v[48:49], v[38:39], v[14:15]
	v_add_f64 v[32:33], v[16:17], v[30:31]
	;; [unrolled: 1-line block ×3, first 2 shown]
	v_ldexp_f64 v[34:35], v[32:33], -2
	v_add_f64 v[16:17], v[32:33], -v[16:17]
	v_add_f64 v[32:33], v[50:51], -v[48:49]
	;; [unrolled: 1-line block ×5, first 2 shown]
	v_add_f64 v[22:23], v[22:23], v[32:33]
	v_add_f64 v[32:33], v[48:49], -v[38:39]
	v_add_f64 v[14:15], v[14:15], -v[32:33]
	;; [unrolled: 1-line block ×5, first 2 shown]
	v_add_f64 v[14:15], v[14:15], v[32:33]
	v_fract_f64_e32 v[36:37], v[34:35]
	v_add_f64 v[30:31], v[16:17], v[50:51]
	v_add_f64 v[14:15], v[14:15], v[22:23]
	v_fma_f64 v[12:13], v[24:25], v[12:13], -v[38:39]
	v_add_f64 v[16:17], v[30:31], -v[16:17]
	v_add_f64 v[12:13], v[12:13], v[14:15]
	v_ldexp_f64 v[14:15], v[36:37], 2
	v_cmp_neq_f64_e64 vcc, |v[34:35]|, s[2:3]
	v_add_f64 v[16:17], v[50:51], -v[16:17]
	v_add_f64 v[12:13], v[16:17], v[12:13]
	v_cndmask_b32_e32 v15, 0, v15, vcc
	v_cndmask_b32_e32 v14, 0, v14, vcc
	v_add_f64 v[16:17], v[30:31], v[14:15]
	v_mov_b32_e32 v7, 0x40100000
	v_cmp_gt_f64_e32 vcc, 0, v[16:17]
	v_mov_b32_e32 v16, 0
	s_mov_b32 s12, 0x33145c07
	v_cndmask_b32_e32 v17, 0, v7, vcc
	v_add_f64 v[14:15], v[14:15], v[16:17]
	v_add_f64 v[22:23], v[30:31], v[14:15]
	v_cvt_i32_f64_e32 v7, v[22:23]
	v_cvt_f64_i32_e32 v[22:23], v7
	v_add_f64 v[14:15], v[14:15], -v[22:23]
	v_add_f64 v[22:23], v[30:31], v[14:15]
	v_add_f64 v[14:15], v[22:23], -v[14:15]
	v_add_f64 v[14:15], v[30:31], -v[14:15]
	v_add_f64 v[12:13], v[12:13], v[14:15]
	v_cmp_le_f64_e32 vcc, 0.5, v[22:23]
	v_mov_b32_e32 v14, 0x3ff00000
	s_mov_b32 s13, 0x3c91a626
	v_cndmask_b32_e32 v17, 0, v14, vcc
	v_addc_co_u32_e64 v7, s[2:3], 0, v7, vcc
	v_add_f64 v[14:15], v[22:23], -v[16:17]
	v_add_f64 v[16:17], v[14:15], v[12:13]
	s_mov_b32 s2, 0x54442d18
	v_add_f64 v[14:15], v[16:17], -v[14:15]
	s_mov_b32 s3, 0x3ff921fb
	v_add_f64 v[12:13], v[12:13], -v[14:15]
	v_mul_f64 v[14:15], v[16:17], s[2:3]
	v_fma_f64 v[22:23], v[16:17], s[2:3], -v[14:15]
	v_fmac_f64_e32 v[22:23], s[12:13], v[16:17]
	v_fmac_f64_e32 v[22:23], s[2:3], v[12:13]
	v_add_f64 v[12:13], v[14:15], v[22:23]
	v_add_f64 v[14:15], v[12:13], -v[14:15]
	v_add_f64 v[14:15], v[22:23], -v[14:15]
	s_andn2_saveexec_b64 s[2:3], s[10:11]
	s_cbranch_execz .LBB0_20
	s_branch .LBB0_19
.LBB0_18:
	s_andn2_saveexec_b64 s[2:3], s[10:11]
	s_cbranch_execz .LBB0_20
.LBB0_19:
	s_mov_b32 s10, 0x6dc9c883
	s_mov_b32 s11, 0x3fe45f30
	v_mul_f64 v[12:13], |v[2:3]|, s[10:11]
	s_mov_b32 s10, 0x54442d18
	v_rndne_f64_e32 v[16:17], v[12:13]
	s_mov_b32 s11, 0xbff921fb
	v_fma_f64 v[12:13], v[16:17], s[10:11], |v[2:3]|
	s_mov_b32 s11, 0xbc91a626
	s_mov_b32 s10, 0x33145c00
	v_mul_f64 v[22:23], v[16:17], s[10:11]
	v_add_f64 v[32:33], v[12:13], v[22:23]
	v_fma_f64 v[14:15], s[10:11], v[16:17], v[12:13]
	s_mov_b32 s11, 0x3c91a626
	v_add_f64 v[12:13], v[12:13], -v[32:33]
	v_fma_f64 v[30:31], s[10:11], v[16:17], v[22:23]
	v_add_f64 v[12:13], v[12:13], v[22:23]
	v_add_f64 v[22:23], v[32:33], -v[14:15]
	v_add_f64 v[12:13], v[22:23], v[12:13]
	s_mov_b32 s10, 0x252049c0
	v_add_f64 v[22:23], v[12:13], -v[30:31]
	s_mov_b32 s11, 0xb97b839a
	v_fmac_f64_e32 v[22:23], s[10:11], v[16:17]
	v_add_f64 v[12:13], v[14:15], v[22:23]
	v_add_f64 v[14:15], v[12:13], -v[14:15]
	v_add_f64 v[14:15], v[22:23], -v[14:15]
	v_cvt_i32_f64_e32 v7, v[16:17]
.LBB0_20:
	s_or_b64 exec, exec, s[2:3]
                                        ; implicit-def: $vgpr30
                                        ; implicit-def: $vgpr16_vgpr17
                                        ; implicit-def: $vgpr22_vgpr23
	s_and_saveexec_b64 s[2:3], s[8:9]
	s_xor_b64 s[8:9], exec, s[2:3]
	s_cbranch_execz .LBB0_22
; %bb.21:
	s_mov_b32 s2, 0
	s_mov_b32 s3, 0x7b000000
	s_movk_i32 s10, 0xff80
	v_and_b32_e32 v22, 0x7fffffff, v3
	v_ldexp_f64 v[16:17], |v[2:3]|, s10
	v_cmp_ge_f64_e64 vcc, |v[2:3]|, s[2:3]
	s_mov_b32 s2, 0
	s_mov_b32 s3, 0x7ff00000
	v_cndmask_b32_e32 v17, v22, v17, vcc
	v_cndmask_b32_e32 v16, v2, v16, vcc
	v_mul_f64 v[30:31], v[28:29], v[16:17]
	v_mul_f64 v[22:23], v[26:27], v[16:17]
	v_fma_f64 v[28:29], v[28:29], v[16:17], -v[30:31]
	v_add_f64 v[32:33], v[22:23], v[28:29]
	v_add_f64 v[48:49], v[32:33], -v[22:23]
	v_add_f64 v[28:29], v[28:29], -v[48:49]
	;; [unrolled: 1-line block ×4, first 2 shown]
	v_fma_f64 v[22:23], v[26:27], v[16:17], -v[22:23]
	v_mul_f64 v[26:27], v[24:25], v[16:17]
	v_add_f64 v[28:29], v[28:29], v[48:49]
	v_add_f64 v[48:49], v[26:27], v[22:23]
	;; [unrolled: 1-line block ×4, first 2 shown]
	v_ldexp_f64 v[36:37], v[34:35], -2
	v_add_f64 v[30:31], v[34:35], -v[30:31]
	v_add_f64 v[34:35], v[50:51], -v[48:49]
	;; [unrolled: 1-line block ×5, first 2 shown]
	v_add_f64 v[28:29], v[28:29], v[34:35]
	v_add_f64 v[34:35], v[48:49], -v[26:27]
	v_add_f64 v[22:23], v[22:23], -v[34:35]
	;; [unrolled: 1-line block ×4, first 2 shown]
	v_add_f64 v[22:23], v[22:23], v[34:35]
	v_fract_f64_e32 v[38:39], v[36:37]
	v_add_f64 v[22:23], v[22:23], v[28:29]
	v_fma_f64 v[16:17], v[24:25], v[16:17], -v[26:27]
	v_add_f64 v[30:31], v[32:33], -v[30:31]
	v_add_f64 v[16:17], v[16:17], v[22:23]
	v_ldexp_f64 v[22:23], v[38:39], 2
	v_cmp_neq_f64_e64 vcc, |v[36:37]|, s[2:3]
	v_add_f64 v[32:33], v[30:31], v[50:51]
	v_mov_b32_e32 v26, 0x40100000
	v_cndmask_b32_e32 v23, 0, v23, vcc
	v_cndmask_b32_e32 v22, 0, v22, vcc
	v_add_f64 v[24:25], v[32:33], v[22:23]
	v_cmp_gt_f64_e32 vcc, 0, v[24:25]
	v_mov_b32_e32 v24, 0
	v_add_f64 v[30:31], v[32:33], -v[30:31]
	v_cndmask_b32_e32 v25, 0, v26, vcc
	v_add_f64 v[22:23], v[22:23], v[24:25]
	v_add_f64 v[26:27], v[32:33], v[22:23]
	v_cvt_i32_f64_e32 v25, v[26:27]
	v_cvt_f64_i32_e32 v[26:27], v25
	v_add_f64 v[22:23], v[22:23], -v[26:27]
	v_add_f64 v[26:27], v[32:33], v[22:23]
	v_add_f64 v[30:31], v[50:51], -v[30:31]
	v_add_f64 v[22:23], v[26:27], -v[22:23]
	v_add_f64 v[16:17], v[30:31], v[16:17]
	v_add_f64 v[22:23], v[32:33], -v[22:23]
	v_add_f64 v[16:17], v[16:17], v[22:23]
	v_cmp_le_f64_e32 vcc, 0.5, v[26:27]
	v_mov_b32_e32 v22, 0x3ff00000
	s_mov_b32 s10, 0x33145c07
	v_addc_co_u32_e64 v30, s[2:3], 0, v25, vcc
	v_cndmask_b32_e32 v25, 0, v22, vcc
	v_add_f64 v[22:23], v[26:27], -v[24:25]
	v_add_f64 v[24:25], v[22:23], v[16:17]
	s_mov_b32 s2, 0x54442d18
	v_add_f64 v[22:23], v[24:25], -v[22:23]
	s_mov_b32 s3, 0x3ff921fb
	v_add_f64 v[16:17], v[16:17], -v[22:23]
	v_mul_f64 v[22:23], v[24:25], s[2:3]
	v_fma_f64 v[26:27], v[24:25], s[2:3], -v[22:23]
	s_mov_b32 s11, 0x3c91a626
	v_fmac_f64_e32 v[26:27], s[10:11], v[24:25]
	v_fmac_f64_e32 v[26:27], s[2:3], v[16:17]
	v_add_f64 v[16:17], v[22:23], v[26:27]
	v_add_f64 v[22:23], v[16:17], -v[22:23]
	v_add_f64 v[22:23], v[26:27], -v[22:23]
	s_andn2_saveexec_b64 s[2:3], s[8:9]
	s_cbranch_execnz .LBB0_23
	s_branch .LBB0_24
.LBB0_22:
	s_andn2_saveexec_b64 s[2:3], s[8:9]
	s_cbranch_execz .LBB0_24
.LBB0_23:
	s_mov_b32 s8, 0x6dc9c883
	s_mov_b32 s9, 0x3fe45f30
	v_mul_f64 v[16:17], |v[2:3]|, s[8:9]
	s_mov_b32 s8, 0x54442d18
	v_rndne_f64_e32 v[24:25], v[16:17]
	s_mov_b32 s9, 0xbff921fb
	v_fma_f64 v[16:17], v[24:25], s[8:9], |v[2:3]|
	s_mov_b32 s9, 0xbc91a626
	s_mov_b32 s8, 0x33145c00
	v_mul_f64 v[26:27], v[24:25], s[8:9]
	v_add_f64 v[30:31], v[16:17], v[26:27]
	v_fma_f64 v[22:23], s[8:9], v[24:25], v[16:17]
	s_mov_b32 s9, 0x3c91a626
	v_add_f64 v[16:17], v[16:17], -v[30:31]
	v_fma_f64 v[28:29], s[8:9], v[24:25], v[26:27]
	v_add_f64 v[16:17], v[16:17], v[26:27]
	v_add_f64 v[26:27], v[30:31], -v[22:23]
	v_add_f64 v[16:17], v[26:27], v[16:17]
	s_mov_b32 s8, 0x252049c0
	v_add_f64 v[26:27], v[16:17], -v[28:29]
	s_mov_b32 s9, 0xb97b839a
	v_fmac_f64_e32 v[26:27], s[8:9], v[24:25]
	v_add_f64 v[16:17], v[22:23], v[26:27]
	v_add_f64 v[22:23], v[16:17], -v[22:23]
	v_add_f64 v[22:23], v[26:27], -v[22:23]
	v_cvt_i32_f64_e32 v30, v[24:25]
.LBB0_24:
	s_or_b64 exec, exec, s[2:3]
	s_mov_b32 s2, 0
	s_mov_b32 s3, 0x40140000
	v_div_scale_f64 v[24:25], s[8:9], v[20:21], v[20:21], s[2:3]
	v_rcp_f64_e32 v[26:27], v[24:25]
	v_mov_b32_e32 v34, 0x5948aa83
	v_mov_b32_e32 v35, 0x3fb19fdd
	;; [unrolled: 1-line block ×3, first 2 shown]
	v_fma_f64 v[28:29], -v[24:25], v[26:27], 1.0
	v_fmac_f64_e32 v[26:27], v[26:27], v[28:29]
	v_fma_f64 v[28:29], -v[24:25], v[26:27], 1.0
	v_fmac_f64_e32 v[26:27], v[26:27], v[28:29]
	v_div_scale_f64 v[28:29], vcc, s[2:3], v[20:21], s[2:3]
	v_mul_f64 v[32:33], v[28:29], v[26:27]
	v_fma_f64 v[24:25], -v[24:25], v[32:33], v[28:29]
	v_mov_b32_e32 v28, 0x4c6c651b
	s_nop 0
	v_div_fmas_f64 v[24:25], v[24:25], v[26:27], v[32:33]
	v_div_fixup_f64 v[24:25], v[24:25], v[20:21], s[2:3]
	v_mul_f64 v[26:27], v[24:25], v[24:25]
	v_mov_b32_e32 v29, 0x3f48f92c
	v_fmac_f64_e32 v[28:29], 0, v[26:27]
	v_mov_b32_e32 v32, 0xa3fec4b6
	v_mov_b32_e32 v33, 0x3fb2b948
	v_fmac_f64_e32 v[32:33], v[26:27], v[28:29]
	v_mov_b32_e32 v28, 0xc21596d6
	;; [unrolled: 3-line block ×6, first 2 shown]
	v_mov_b32_e32 v29, 0x3f42b89b
	v_fmac_f64_e32 v[28:29], 0, v[26:27]
	v_fmac_f64_e32 v[34:35], v[26:27], v[28:29]
	v_mov_b32_e32 v28, 0xb850eed6
	v_mov_b32_e32 v29, 0x3ff1aea9
	v_fmac_f64_e32 v[28:29], v[26:27], v[34:35]
	v_mov_b32_e32 v34, 0xf7d251a1
	v_mov_b32_e32 v35, 0x40144ba2
	v_fmac_f64_e32 v[34:35], v[26:27], v[28:29]
	v_mov_b32_e32 v28, 0xdda2fd65
	v_mov_b32_e32 v29, 0x4020ccb9
	v_fmac_f64_e32 v[28:29], v[26:27], v[34:35]
	v_mov_b32_e32 v34, 0x4762b4d9
	v_mov_b32_e32 v35, 0x4014d6dd
	v_fmac_f64_e32 v[34:35], v[26:27], v[28:29]
	v_fma_f64 v[28:29], v[26:27], v[34:35], 1.0
	v_mov_b32_e32 v34, 0x6b70ba40
	v_mov_b32_e32 v35, 0x3faa27fa
	v_fmac_f64_e32 v[34:35], 0, v[26:27]
	v_mov_b32_e32 v37, 0x4013edb5
	v_fmac_f64_e32 v[36:37], v[26:27], v[34:35]
	v_mov_b32_e32 v34, 0x9acf1c67
	v_mov_b32_e32 v35, 0x4052f4b9
	v_fmac_f64_e32 v[34:35], v[26:27], v[36:37]
	v_mov_b32_e32 v36, 0x47aa180d
	v_mov_b32_e32 v37, 0x4076ec79
	v_fmac_f64_e32 v[36:37], v[26:27], v[34:35]
	v_mov_b32_e32 v34, 0xb66f6e50
	v_mov_b32_e32 v35, 0x408636d9
	v_fmac_f64_e32 v[34:35], v[26:27], v[36:37]
	v_mov_b32_e32 v36, 0xb9e802d0
	v_mov_b32_e32 v37, 0x4082abea
	v_fmac_f64_e32 v[36:37], v[26:27], v[34:35]
	v_mov_b32_e32 v34, 0x4c54bb0b
	v_mov_b32_e32 v35, 0x406a760a
	v_fmac_f64_e32 v[34:35], v[26:27], v[36:37]
	v_mov_b32_e32 v36, 0x4d159eb5
	v_mov_b32_e32 v37, 0x403934ff
	v_fmac_f64_e32 v[36:37], v[26:27], v[34:35]
	v_mov_b32_e32 v34, 0x60895077
	v_mov_b32_e32 v35, 0x40528f30
	v_fmac_f64_e32 v[34:35], 0, v[26:27]
	v_mov_b32_e32 v38, 0xa20e5f6f
	v_mov_b32_e32 v39, 0x409081cb
	v_fmac_f64_e32 v[38:39], v[26:27], v[34:35]
	v_mov_b32_e32 v34, 0x1bfdfe81
	v_mov_b32_e32 v35, 0x40b37a69
	v_fmac_f64_e32 v[34:35], v[26:27], v[38:39]
	v_mov_b32_e32 v38, 0xd280d118
	v_mov_b32_e32 v39, 0x40c2ad28
	v_fmac_f64_e32 v[38:39], v[26:27], v[34:35]
	v_mov_b32_e32 v34, 0xa6973d14
	v_mov_b32_e32 v35, 0x40bf3d0a
	v_fmac_f64_e32 v[34:35], v[26:27], v[38:39]
	v_mov_b32_e32 v38, 0xb4bd1781
	v_mov_b32_e32 v39, 0x40a61462
	v_fma_f64 v[32:33], v[26:27], v[32:33], 1.0
	v_fmac_f64_e32 v[38:39], v[26:27], v[34:35]
	v_div_scale_f64 v[34:35], s[2:3], v[28:29], v[28:29], v[32:33]
	v_rcp_f64_e32 v[48:49], v[34:35]
	v_mov_b32_e32 v50, 0x6ae75997
	v_mov_b32_e32 v51, 0x4075017f
	v_fmac_f64_e32 v[50:51], v[26:27], v[38:39]
	v_fma_f64 v[26:27], -v[34:35], v[48:49], 1.0
	v_fmac_f64_e32 v[48:49], v[48:49], v[26:27]
	v_fma_f64 v[26:27], -v[34:35], v[48:49], 1.0
	v_fmac_f64_e32 v[48:49], v[48:49], v[26:27]
	v_div_scale_f64 v[26:27], vcc, v[32:33], v[28:29], v[32:33]
	v_mul_f64 v[38:39], v[26:27], v[48:49]
	v_fma_f64 v[26:27], -v[34:35], v[38:39], v[26:27]
	s_mov_b32 s2, 0x9037ab78
	s_nop 0
	v_div_fmas_f64 v[26:27], v[26:27], v[48:49], v[38:39]
	s_mov_b32 s3, 0x3e21eeb6
	s_mov_b32 s8, 0x46cc5e42
	v_div_fixup_f64 v[26:27], v[26:27], v[28:29], v[32:33]
	v_mul_f64 v[28:29], v[12:13], v[12:13]
	s_mov_b32 s9, 0xbda907db
	v_mov_b64_e32 v[48:49], s[2:3]
	s_mov_b32 s10, 0xa17f65f6
	v_mul_f64 v[32:33], v[28:29], 0.5
	v_fma_f64 v[52:53], s[8:9], v[28:29], v[48:49]
	s_mov_b32 s11, 0xbe927e4f
	s_mov_b32 s12, 0x19f4ec90
	v_add_f64 v[34:35], -v[32:33], 1.0
	v_fma_f64 v[52:53], v[28:29], v[52:53], s[10:11]
	s_mov_b32 s13, 0x3efa01a0
	s_mov_b32 s14, 0x16c16967
	v_add_f64 v[38:39], -v[34:35], 1.0
	v_fma_f64 v[52:53], v[28:29], v[52:53], s[12:13]
	s_mov_b32 s15, 0xbf56c16c
	s_mov_b32 s18, 0x55555555
	v_add_f64 v[32:33], v[38:39], -v[32:33]
	v_fma_f64 v[52:53], v[28:29], v[52:53], s[14:15]
	s_mov_b32 s19, 0x3fa55555
	v_mul_f64 v[38:39], v[28:29], v[28:29]
	v_fma_f64 v[52:53], v[28:29], v[52:53], s[18:19]
	v_fma_f64 v[32:33], v[12:13], -v[14:15], v[32:33]
	s_mov_b32 s2, 0xb42fdfa7
	v_fmac_f64_e32 v[32:33], v[38:39], v[52:53]
	s_mov_b32 s3, 0xbe5ae600
	s_mov_b32 s20, 0xf9a43bb8
	v_add_f64 v[32:33], v[34:35], v[32:33]
	s_mov_b32 s21, 0x3de5e0b2
	v_mov_b64_e32 v[34:35], s[2:3]
	s_mov_b32 s22, 0x796cde01
	v_fma_f64 v[38:39], s[20:21], v[28:29], v[34:35]
	s_mov_b32 s23, 0x3ec71de3
	s_mov_b32 s24, 0x19e83e5c
	v_fma_f64 v[38:39], v[28:29], v[38:39], s[22:23]
	s_mov_b32 s25, 0xbf2a01a0
	;; [unrolled: 3-line block ×3, first 2 shown]
	v_fma_f64 v[38:39], v[28:29], v[38:39], s[26:27]
	v_mul_f64 v[52:53], v[12:13], -v[28:29]
	v_mul_f64 v[54:55], v[14:15], 0.5
	v_fmac_f64_e32 v[54:55], v[52:53], v[38:39]
	v_fma_f64 v[14:15], v[28:29], v[54:55], -v[14:15]
	s_mov_b32 s29, 0xbfc55555
	s_mov_b32 s28, s18
	v_fmac_f64_e32 v[14:15], s[28:29], v[52:53]
	v_add_f64 v[12:13], v[12:13], -v[14:15]
	v_and_b32_e32 v14, 1, v7
	v_cmp_eq_u32_e32 vcc, 0, v14
	v_lshlrev_b32_e32 v7, 30, v7
	v_xor_b32_e32 v7, v7, v3
	v_cndmask_b32_e32 v28, v32, v12, vcc
	v_cndmask_b32_e32 v12, v33, v13, vcc
	s_brev_b32 s17, 1
	v_bitop3_b32 v7, v12, v7, s17 bitop3:0x78
	v_div_scale_f64 v[12:13], s[2:3], v[50:51], v[50:51], v[36:37]
	v_rcp_f64_e32 v[14:15], v[12:13]
	s_movk_i32 s40, 0x1f8
	v_cmp_class_f64_e64 s[2:3], v[2:3], s40
	v_mov_b32_e32 v31, 0x7ff80000
	s_nop 0
	v_cndmask_b32_e64 v2, 0, v28, s[2:3]
	v_fma_f64 v[28:29], -v[12:13], v[14:15], 1.0
	v_fmac_f64_e32 v[14:15], v[14:15], v[28:29]
	v_fma_f64 v[28:29], -v[12:13], v[14:15], 1.0
	v_fmac_f64_e32 v[14:15], v[14:15], v[28:29]
	v_div_scale_f64 v[28:29], vcc, v[36:37], v[50:51], v[36:37]
	v_mul_f64 v[32:33], v[28:29], v[14:15]
	v_fma_f64 v[12:13], -v[12:13], v[32:33], v[28:29]
	v_cndmask_b32_e64 v3, v31, v7, s[2:3]
	s_nop 0
	v_div_fmas_f64 v[12:13], v[12:13], v[14:15], v[32:33]
	v_div_fixup_f64 v[12:13], v[12:13], v[50:51], v[36:37]
	v_mul_f64 v[14:15], v[16:17], v[16:17]
	v_mul_f64 v[12:13], v[24:25], v[12:13]
	v_mul_f64 v[24:25], v[14:15], 0.5
	v_fmac_f64_e32 v[48:49], s[8:9], v[14:15]
	v_add_f64 v[28:29], -v[24:25], 1.0
	v_fma_f64 v[36:37], v[14:15], v[48:49], s[10:11]
	v_add_f64 v[32:33], -v[28:29], 1.0
	v_fma_f64 v[36:37], v[14:15], v[36:37], s[12:13]
	v_add_f64 v[24:25], v[32:33], -v[24:25]
	v_fma_f64 v[36:37], v[14:15], v[36:37], s[14:15]
	v_mul_f64 v[32:33], v[14:15], v[14:15]
	v_fma_f64 v[36:37], v[14:15], v[36:37], s[18:19]
	v_fma_f64 v[24:25], v[16:17], -v[22:23], v[24:25]
	v_fmac_f64_e32 v[24:25], v[32:33], v[36:37]
	v_fmac_f64_e32 v[34:35], s[20:21], v[14:15]
	v_add_f64 v[24:25], v[28:29], v[24:25]
	v_fma_f64 v[28:29], v[14:15], v[34:35], s[22:23]
	v_fma_f64 v[28:29], v[14:15], v[28:29], s[24:25]
	;; [unrolled: 1-line block ×3, first 2 shown]
	v_mul_f64 v[32:33], v[16:17], -v[14:15]
	v_mul_f64 v[34:35], v[22:23], 0.5
	v_fmac_f64_e32 v[34:35], v[32:33], v[28:29]
	v_fma_f64 v[14:15], v[14:15], v[34:35], -v[22:23]
	v_fmac_f64_e32 v[14:15], s[28:29], v[32:33]
	v_add_f64 v[14:15], v[16:17], -v[14:15]
	v_xor_b32_e32 v7, 0x80000000, v15
	v_and_b32_e32 v15, 1, v30
	v_cmp_eq_u32_e32 vcc, 0, v15
	v_lshlrev_b32_e32 v15, 30, v30
	s_nop 0
	v_cndmask_b32_e32 v7, v7, v25, vcc
	v_cndmask_b32_e32 v14, v14, v24, vcc
	v_bitop3_b32 v7, v7, v15, s17 bitop3:0x78
	v_cndmask_b32_e64 v14, 0, v14, s[2:3]
	v_cndmask_b32_e64 v15, v31, v7, s[2:3]
	s_mov_b32 s2, 0
	v_mul_f64 v[12:13], v[12:13], v[14:15]
	s_brev_b32 s3, 8
	v_fmac_f64_e32 v[12:13], v[26:27], v[2:3]
	v_mov_b32_e32 v2, 0x100
	v_cmp_gt_f64_e32 vcc, s[2:3], v[20:21]
	v_mov_b32_e32 v7, 0xffffff80
	s_mov_b32 s2, 0x33d43651
	v_cndmask_b32_e32 v2, 0, v2, vcc
	v_ldexp_f64 v[2:3], v[20:21], v2
	v_rsq_f64_e32 v[14:15], v[2:3]
	v_cndmask_b32_e32 v7, 0, v7, vcc
	s_mov_b32 s3, 0x3fe98845
	v_mul_f64 v[12:13], v[12:13], s[2:3]
	v_mul_f64 v[16:17], v[2:3], v[14:15]
	v_mul_f64 v[14:15], v[14:15], 0.5
	v_fma_f64 v[20:21], -v[14:15], v[16:17], 0.5
	v_fmac_f64_e32 v[16:17], v[16:17], v[20:21]
	v_fma_f64 v[22:23], -v[16:17], v[16:17], v[2:3]
	v_fmac_f64_e32 v[14:15], v[14:15], v[20:21]
	v_fmac_f64_e32 v[16:17], v[22:23], v[14:15]
	v_fma_f64 v[20:21], -v[16:17], v[16:17], v[2:3]
	v_fmac_f64_e32 v[16:17], v[20:21], v[14:15]
	v_ldexp_f64 v[14:15], v[16:17], v7
	v_mov_b32_e32 v7, 0x260
	v_cmp_class_f64_e32 vcc, v[2:3], v7
	s_nop 1
	v_cndmask_b32_e32 v3, v15, v3, vcc
	v_cndmask_b32_e32 v2, v14, v2, vcc
	v_div_scale_f64 v[14:15], s[2:3], v[2:3], v[2:3], v[12:13]
	v_rcp_f64_e32 v[16:17], v[14:15]
	s_nop 0
	v_fma_f64 v[20:21], -v[14:15], v[16:17], 1.0
	v_fmac_f64_e32 v[16:17], v[16:17], v[20:21]
	v_fma_f64 v[20:21], -v[14:15], v[16:17], 1.0
	v_fmac_f64_e32 v[16:17], v[16:17], v[20:21]
	v_div_scale_f64 v[20:21], vcc, v[12:13], v[2:3], v[12:13]
	v_mul_f64 v[22:23], v[20:21], v[16:17]
	v_fma_f64 v[14:15], -v[14:15], v[22:23], v[20:21]
	s_nop 1
	v_div_fmas_f64 v[14:15], v[14:15], v[16:17], v[22:23]
	v_div_fixup_f64 v[2:3], v[14:15], v[2:3], v[12:13]
.LBB0_25:
	s_or_b64 exec, exec, s[6:7]
	v_mov_b32_e32 v16, 0
	v_mov_b32_e32 v17, v16
	;; [unrolled: 1-line block ×6, first 2 shown]
.LBB0_26:
	s_or_b64 exec, exec, s[4:5]
	v_add_u32_e32 v34, 0x100, v5
	v_cmp_lt_i32_e32 vcc, v34, v4
	s_and_saveexec_b64 s[4:5], vcc
	s_cbranch_execz .LBB0_44
; %bb.27:
	s_mov_b32 s2, 0
	s_mov_b32 s3, 0x40140000
	s_waitcnt vmcnt(0) lgkmcnt(0)
	v_cmp_ge_f64_e32 vcc, s[2:3], v[18:19]
	s_and_saveexec_b64 s[2:3], vcc
	s_xor_b64 s[2:3], exec, s[2:3]
                                        ; implicit-def: $vgpr16_vgpr17
	s_cbranch_execz .LBB0_33
; %bb.28:
	v_mov_b32_e32 v16, 0
	v_cmp_neq_f64_e32 vcc, 0, v[18:19]
	v_mov_b32_e32 v17, 0xfff00000
	s_and_saveexec_b64 s[6:7], vcc
	s_cbranch_execz .LBB0_32
; %bb.29:
	v_mov_b32_e32 v16, 0
	v_cmp_nge_f64_e32 vcc, 0, v[18:19]
	v_mov_b32_e32 v17, 0x7ff80000
	s_and_saveexec_b64 s[8:9], vcc
	s_cbranch_execz .LBB0_31
; %bb.30:
	v_mul_f64 v[16:17], v[18:19], v[18:19]
	v_mov_b32_e32 v20, 0x62f9b6c5
	v_mov_b32_e32 v21, 0x41d2d2be
	v_fmac_f64_e32 v[20:21], 0, v[16:17]
	v_mov_b32_e32 v22, 0x58836521
	v_mov_b32_e32 v23, 0xc262d72d
	v_fmac_f64_e32 v[22:23], v[16:17], v[20:21]
	;; [unrolled: 3-line block ×14, first 2 shown]
	v_div_scale_f64 v[20:21], s[10:11], v[24:25], v[24:25], v[22:23]
	v_rcp_f64_e32 v[26:27], v[20:21]
	v_mov_b32_e32 v32, 0xd438c6b
	v_mov_b32_e32 v33, 0x425a52ba
	;; [unrolled: 1-line block ×3, first 2 shown]
	v_fma_f64 v[28:29], -v[20:21], v[26:27], 1.0
	v_fmac_f64_e32 v[26:27], v[26:27], v[28:29]
	v_fma_f64 v[28:29], -v[20:21], v[26:27], 1.0
	v_fmac_f64_e32 v[26:27], v[26:27], v[28:29]
	v_div_scale_f64 v[28:29], vcc, v[22:23], v[24:25], v[22:23]
	v_mul_f64 v[30:31], v[28:29], v[26:27]
	v_fma_f64 v[20:21], -v[20:21], v[30:31], v[28:29]
	v_mov_b32_e32 v28, 0x4cda4fc5
	v_mov_b32_e32 v29, 0xc1cad23c
	v_fmac_f64_e32 v[28:29], 0, v[16:17]
	v_fmac_f64_e32 v[32:33], v[16:17], v[28:29]
	v_mov_b32_e32 v28, 0xe6ccf175
	v_mov_b32_e32 v29, 0xc2d08a92
	v_fmac_f64_e32 v[28:29], v[16:17], v[32:33]
	v_mov_b32_e32 v32, 0x1b7086e7
	v_mov_b32_e32 v33, 0x408366b1
	v_fmac_f64_e32 v[32:33], 0, v[16:17]
	v_mov_b32_e32 v37, 0x410f5eda
	v_fmac_f64_e32 v[36:37], v[16:17], v[32:33]
	v_mov_b32_e32 v32, 0xdc92a1b1
	v_mov_b32_e32 v33, 0x4193e954
	v_fmac_f64_e32 v[32:33], v[16:17], v[36:37]
	v_mov_b32_e32 v36, 0x7befeac1
	;; [unrolled: 3-line block ×7, first 2 shown]
	v_mov_b32_e32 v33, 0x432a2b42
	v_fmac_f64_e32 v[32:33], v[16:17], v[28:29]
	v_div_scale_f64 v[16:17], s[10:11], v[36:37], v[36:37], v[32:33]
	v_rcp_f64_e32 v[28:29], v[16:17]
	v_div_fmas_f64 v[20:21], v[20:21], v[26:27], v[30:31]
	v_div_fixup_f64 v[20:21], v[20:21], v[24:25], v[22:23]
	s_mov_b32 s10, 0x55555555
	v_fma_f64 v[22:23], -v[16:17], v[28:29], 1.0
	v_fmac_f64_e32 v[28:29], v[28:29], v[22:23]
	v_fma_f64 v[22:23], -v[16:17], v[28:29], 1.0
	v_fmac_f64_e32 v[28:29], v[28:29], v[22:23]
	v_div_scale_f64 v[22:23], vcc, v[32:33], v[36:37], v[32:33]
	v_mul_f64 v[24:25], v[22:23], v[28:29]
	v_fma_f64 v[16:17], -v[16:17], v[24:25], v[22:23]
	v_mov_b32_e32 v22, 0x4189822c
	s_nop 0
	v_div_fmas_f64 v[16:17], v[16:17], v[28:29], v[24:25]
	v_div_fixup_f64 v[16:17], v[16:17], v[36:37], v[32:33]
	v_mov_b32_e32 v23, 0xc02d5d2b
	v_mul_f64 v[16:17], v[18:19], v[16:17]
	v_fmac_f64_e32 v[22:23], v[18:19], v[18:19]
	v_mul_f64 v[16:17], v[22:23], v[16:17]
	v_mov_b32_e32 v22, 0x6072a432
	v_mov_b32_e32 v23, 0xc0489bf6
	v_fmac_f64_e32 v[22:23], v[18:19], v[18:19]
	v_mul_f64 v[16:17], v[22:23], v[16:17]
	v_frexp_mant_f64_e32 v[22:23], v[18:19]
	s_mov_b32 s11, 0x3fe55555
	v_cmp_gt_f64_e32 vcc, s[10:11], v[22:23]
	s_mov_b32 s10, 0xbf559e2b
	s_mov_b32 s11, 0x3fc3ab76
	v_cndmask_b32_e64 v24, 0, 1, vcc
	v_ldexp_f64 v[22:23], v[22:23], v24
	v_add_f64 v[24:25], v[22:23], 1.0
	v_rcp_f64_e32 v[26:27], v[24:25]
	v_add_f64 v[30:31], v[24:25], -1.0
	v_add_f64 v[28:29], v[22:23], -1.0
	v_add_f64 v[22:23], v[22:23], -v[30:31]
	v_fma_f64 v[30:31], -v[24:25], v[26:27], 1.0
	v_fmac_f64_e32 v[26:27], v[30:31], v[26:27]
	v_fma_f64 v[30:31], -v[24:25], v[26:27], 1.0
	v_fmac_f64_e32 v[26:27], v[30:31], v[26:27]
	v_mul_f64 v[30:31], v[28:29], v[26:27]
	v_mul_f64 v[32:33], v[24:25], v[30:31]
	v_fma_f64 v[24:25], v[30:31], v[24:25], -v[32:33]
	v_fmac_f64_e32 v[24:25], v[30:31], v[22:23]
	v_add_f64 v[22:23], v[32:33], v[24:25]
	v_add_f64 v[36:37], v[28:29], -v[22:23]
	v_add_f64 v[32:33], v[22:23], -v[32:33]
	;; [unrolled: 1-line block ×5, first 2 shown]
	v_add_f64 v[22:23], v[24:25], v[22:23]
	v_add_f64 v[22:23], v[36:37], v[22:23]
	v_mul_f64 v[22:23], v[26:27], v[22:23]
	v_add_f64 v[24:25], v[30:31], v[22:23]
	v_add_f64 v[26:27], v[24:25], -v[30:31]
	v_add_f64 v[22:23], v[22:23], -v[26:27]
	v_mul_f64 v[26:27], v[24:25], v[24:25]
	v_mov_b32_e32 v28, 0x6b47b09a
	v_mov_b32_e32 v29, 0x3fc38538
	v_fmac_f64_e32 v[28:29], s[10:11], v[26:27]
	v_mov_b32_e32 v30, 0xd7f4df2e
	v_mov_b32_e32 v31, 0x3fc7474d
	v_fmac_f64_e32 v[30:31], v[26:27], v[28:29]
	v_mov_b32_e32 v28, 0x16291751
	v_mov_b32_e32 v29, 0x3fcc71c0
	v_fmac_f64_e32 v[28:29], v[26:27], v[30:31]
	v_mov_b32_e32 v30, 0x9b27acf1
	v_mov_b32_e32 v31, 0x3fd24924
	v_fmac_f64_e32 v[30:31], v[26:27], v[28:29]
	v_mov_b32_e32 v28, 0x998ef7b6
	v_mov_b32_e32 v29, 0x3fd99999
	v_fmac_f64_e32 v[28:29], v[26:27], v[30:31]
	v_mov_b32_e32 v30, 0x55555780
	v_mov_b32_e32 v31, 0x3fe55555
	v_fmac_f64_e32 v[30:31], v[26:27], v[28:29]
	v_ldexp_f64 v[28:29], v[24:25], 1
	v_mul_f64 v[24:25], v[24:25], v[26:27]
	v_mul_f64 v[24:25], v[24:25], v[30:31]
	v_add_f64 v[26:27], v[28:29], v[24:25]
	v_add_f64 v[28:29], v[26:27], -v[28:29]
	v_ldexp_f64 v[22:23], v[22:23], 1
	v_add_f64 v[24:25], v[24:25], -v[28:29]
	v_add_f64 v[22:23], v[22:23], v[24:25]
	v_frexp_exp_i32_f64_e32 v7, v[18:19]
	v_add_f64 v[24:25], v[26:27], v[22:23]
	v_subbrev_co_u32_e32 v7, vcc, 0, v7, vcc
	v_add_f64 v[26:27], v[24:25], -v[26:27]
	s_mov_b32 s10, 0xfefa39ef
	v_add_f64 v[22:23], v[22:23], -v[26:27]
	v_cvt_f64_i32_e32 v[26:27], v7
	s_mov_b32 s11, 0x3fe62e42
	v_mul_f64 v[28:29], v[26:27], s[10:11]
	v_fma_f64 v[30:31], v[26:27], s[10:11], -v[28:29]
	s_mov_b32 s10, 0x3b39803f
	s_mov_b32 s11, 0x3c7abc9e
	v_fmac_f64_e32 v[30:31], s[10:11], v[26:27]
	v_add_f64 v[26:27], v[28:29], v[30:31]
	v_add_f64 v[28:29], v[26:27], -v[28:29]
	v_add_f64 v[28:29], v[30:31], -v[28:29]
	v_add_f64 v[30:31], v[26:27], v[24:25]
	v_add_f64 v[32:33], v[30:31], -v[26:27]
	v_add_f64 v[36:37], v[30:31], -v[32:33]
	;; [unrolled: 1-line block ×4, first 2 shown]
	v_add_f64 v[24:25], v[24:25], v[26:27]
	v_add_f64 v[26:27], v[28:29], v[22:23]
	v_add_f64 v[32:33], v[26:27], -v[28:29]
	v_add_f64 v[36:37], v[26:27], -v[32:33]
	v_add_f64 v[24:25], v[26:27], v[24:25]
	v_add_f64 v[28:29], v[28:29], -v[36:37]
	v_add_f64 v[22:23], v[22:23], -v[32:33]
	v_add_f64 v[26:27], v[30:31], v[24:25]
	v_add_f64 v[22:23], v[22:23], v[28:29]
	v_add_f64 v[28:29], v[26:27], -v[30:31]
	v_div_scale_f64 v[30:31], s[10:11], v[18:19], v[18:19], -1.0
	v_rcp_f64_e32 v[32:33], v[30:31]
	v_add_f64 v[24:25], v[24:25], -v[28:29]
	v_add_f64 v[22:23], v[22:23], v[24:25]
	v_add_f64 v[22:23], v[26:27], v[22:23]
	v_fma_f64 v[24:25], -v[30:31], v[32:33], 1.0
	v_fmac_f64_e32 v[32:33], v[32:33], v[24:25]
	v_fma_f64 v[24:25], -v[30:31], v[32:33], 1.0
	v_fmac_f64_e32 v[32:33], v[32:33], v[24:25]
	v_div_scale_f64 v[24:25], vcc, -1.0, v[18:19], -1.0
	v_mul_f64 v[26:27], v[24:25], v[32:33]
	v_fma_f64 v[24:25], -v[30:31], v[26:27], v[24:25]
	s_mov_b32 s10, 0x6dc9c883
	s_nop 0
	v_div_fmas_f64 v[24:25], v[24:25], v[32:33], v[26:27]
	v_div_fixup_f64 v[24:25], v[24:25], v[18:19], -1.0
	v_fmac_f64_e32 v[24:25], v[16:17], v[22:23]
	s_mov_b32 s11, 0x3fe45f30
	v_mul_f64 v[16:17], v[24:25], s[10:11]
	v_fmac_f64_e32 v[16:17], v[18:19], v[20:21]
.LBB0_31:
	s_or_b64 exec, exec, s[8:9]
.LBB0_32:
	s_or_b64 exec, exec, s[6:7]
                                        ; implicit-def: $vgpr18_vgpr19
.LBB0_33:
	s_andn2_saveexec_b64 s[6:7], s[2:3]
	s_cbranch_execz .LBB0_43
; %bb.34:
	s_mov_b32 s2, 0x7f3321d2
	s_mov_b32 s3, 0xc002d97c
	v_add_f64 v[16:17], v[18:19], s[2:3]
	s_mov_b32 s2, 0
	s_mov_b32 s3, 0x41d00000
	v_cmp_nlt_f64_e64 s[8:9], |v[16:17]|, s[2:3]
	v_trig_preop_f64 v[32:33], |v[16:17]|, 0
	v_trig_preop_f64 v[30:31], |v[16:17]|, 1
	;; [unrolled: 1-line block ×3, first 2 shown]
                                        ; implicit-def: $vgpr7
                                        ; implicit-def: $vgpr20_vgpr21
                                        ; implicit-def: $vgpr22_vgpr23
	s_and_saveexec_b64 s[2:3], s[8:9]
	s_xor_b64 s[10:11], exec, s[2:3]
	s_cbranch_execz .LBB0_36
; %bb.35:
	s_mov_b32 s2, 0
	s_mov_b32 s3, 0x7b000000
	s_movk_i32 s12, 0xff80
	v_and_b32_e32 v7, 0x7fffffff, v17
	v_ldexp_f64 v[20:21], |v[16:17]|, s12
	v_cmp_ge_f64_e64 vcc, |v[16:17]|, s[2:3]
	s_mov_b32 s2, 0
	s_mov_b32 s3, 0x7ff00000
	v_cndmask_b32_e32 v21, v7, v21, vcc
	v_cndmask_b32_e32 v20, v16, v20, vcc
	v_mul_f64 v[24:25], v[32:33], v[20:21]
	v_mul_f64 v[22:23], v[30:31], v[20:21]
	v_fma_f64 v[26:27], v[32:33], v[20:21], -v[24:25]
	v_add_f64 v[36:37], v[22:23], v[26:27]
	v_add_f64 v[52:53], v[36:37], -v[22:23]
	v_add_f64 v[26:27], v[26:27], -v[52:53]
	;; [unrolled: 1-line block ×4, first 2 shown]
	v_add_f64 v[26:27], v[26:27], v[52:53]
	v_fma_f64 v[22:23], v[30:31], v[20:21], -v[22:23]
	v_mul_f64 v[52:53], v[28:29], v[20:21]
	v_add_f64 v[54:55], v[52:53], v[22:23]
	v_add_f64 v[38:39], v[24:25], v[36:37]
	;; [unrolled: 1-line block ×3, first 2 shown]
	v_ldexp_f64 v[48:49], v[38:39], -2
	v_add_f64 v[24:25], v[38:39], -v[24:25]
	v_add_f64 v[38:39], v[64:65], -v[54:55]
	;; [unrolled: 1-line block ×5, first 2 shown]
	v_add_f64 v[26:27], v[26:27], v[38:39]
	v_add_f64 v[38:39], v[54:55], -v[52:53]
	v_add_f64 v[22:23], v[22:23], -v[38:39]
	;; [unrolled: 1-line block ×5, first 2 shown]
	v_add_f64 v[22:23], v[22:23], v[38:39]
	v_fract_f64_e32 v[50:51], v[48:49]
	v_add_f64 v[36:37], v[24:25], v[64:65]
	v_add_f64 v[22:23], v[22:23], v[26:27]
	v_fma_f64 v[20:21], v[28:29], v[20:21], -v[52:53]
	v_add_f64 v[24:25], v[36:37], -v[24:25]
	v_add_f64 v[20:21], v[20:21], v[22:23]
	v_ldexp_f64 v[22:23], v[50:51], 2
	v_cmp_neq_f64_e64 vcc, |v[48:49]|, s[2:3]
	v_add_f64 v[24:25], v[64:65], -v[24:25]
	v_add_f64 v[20:21], v[24:25], v[20:21]
	v_cndmask_b32_e32 v23, 0, v23, vcc
	v_cndmask_b32_e32 v22, 0, v22, vcc
	v_add_f64 v[24:25], v[36:37], v[22:23]
	v_mov_b32_e32 v7, 0x40100000
	v_cmp_gt_f64_e32 vcc, 0, v[24:25]
	v_mov_b32_e32 v24, 0
	s_mov_b32 s12, 0x33145c07
	v_cndmask_b32_e32 v25, 0, v7, vcc
	v_add_f64 v[22:23], v[22:23], v[24:25]
	v_add_f64 v[26:27], v[36:37], v[22:23]
	v_cvt_i32_f64_e32 v7, v[26:27]
	v_cvt_f64_i32_e32 v[26:27], v7
	v_add_f64 v[22:23], v[22:23], -v[26:27]
	v_add_f64 v[26:27], v[36:37], v[22:23]
	v_add_f64 v[22:23], v[26:27], -v[22:23]
	v_add_f64 v[22:23], v[36:37], -v[22:23]
	v_add_f64 v[20:21], v[20:21], v[22:23]
	v_cmp_le_f64_e32 vcc, 0.5, v[26:27]
	v_mov_b32_e32 v22, 0x3ff00000
	s_mov_b32 s13, 0x3c91a626
	v_cndmask_b32_e32 v25, 0, v22, vcc
	v_addc_co_u32_e64 v7, s[2:3], 0, v7, vcc
	v_add_f64 v[22:23], v[26:27], -v[24:25]
	v_add_f64 v[24:25], v[22:23], v[20:21]
	s_mov_b32 s2, 0x54442d18
	v_add_f64 v[22:23], v[24:25], -v[22:23]
	s_mov_b32 s3, 0x3ff921fb
	v_add_f64 v[20:21], v[20:21], -v[22:23]
	v_mul_f64 v[22:23], v[24:25], s[2:3]
	v_fma_f64 v[26:27], v[24:25], s[2:3], -v[22:23]
	v_fmac_f64_e32 v[26:27], s[12:13], v[24:25]
	v_fmac_f64_e32 v[26:27], s[2:3], v[20:21]
	v_add_f64 v[20:21], v[22:23], v[26:27]
	v_add_f64 v[22:23], v[20:21], -v[22:23]
	v_add_f64 v[22:23], v[26:27], -v[22:23]
	s_andn2_saveexec_b64 s[2:3], s[10:11]
	s_cbranch_execz .LBB0_38
	s_branch .LBB0_37
.LBB0_36:
	s_andn2_saveexec_b64 s[2:3], s[10:11]
	s_cbranch_execz .LBB0_38
.LBB0_37:
	s_mov_b32 s10, 0x6dc9c883
	s_mov_b32 s11, 0x3fe45f30
	v_mul_f64 v[20:21], |v[16:17]|, s[10:11]
	s_mov_b32 s10, 0x54442d18
	v_rndne_f64_e32 v[24:25], v[20:21]
	s_mov_b32 s11, 0xbff921fb
	v_fma_f64 v[20:21], v[24:25], s[10:11], |v[16:17]|
	s_mov_b32 s11, 0xbc91a626
	s_mov_b32 s10, 0x33145c00
	v_mul_f64 v[26:27], v[24:25], s[10:11]
	v_add_f64 v[38:39], v[20:21], v[26:27]
	v_fma_f64 v[22:23], s[10:11], v[24:25], v[20:21]
	s_mov_b32 s11, 0x3c91a626
	v_add_f64 v[20:21], v[20:21], -v[38:39]
	v_fma_f64 v[36:37], s[10:11], v[24:25], v[26:27]
	v_add_f64 v[20:21], v[20:21], v[26:27]
	v_add_f64 v[26:27], v[38:39], -v[22:23]
	v_add_f64 v[20:21], v[26:27], v[20:21]
	s_mov_b32 s10, 0x252049c0
	v_add_f64 v[26:27], v[20:21], -v[36:37]
	s_mov_b32 s11, 0xb97b839a
	v_fmac_f64_e32 v[26:27], s[10:11], v[24:25]
	v_add_f64 v[20:21], v[22:23], v[26:27]
	v_add_f64 v[22:23], v[20:21], -v[22:23]
	v_add_f64 v[22:23], v[26:27], -v[22:23]
	v_cvt_i32_f64_e32 v7, v[24:25]
.LBB0_38:
	s_or_b64 exec, exec, s[2:3]
                                        ; implicit-def: $vgpr35
                                        ; implicit-def: $vgpr24_vgpr25
                                        ; implicit-def: $vgpr26_vgpr27
	s_and_saveexec_b64 s[2:3], s[8:9]
	s_xor_b64 s[8:9], exec, s[2:3]
	s_cbranch_execz .LBB0_40
; %bb.39:
	s_mov_b32 s2, 0
	s_mov_b32 s3, 0x7b000000
	s_movk_i32 s10, 0xff80
	v_and_b32_e32 v26, 0x7fffffff, v17
	v_ldexp_f64 v[24:25], |v[16:17]|, s10
	v_cmp_ge_f64_e64 vcc, |v[16:17]|, s[2:3]
	s_mov_b32 s2, 0
	s_mov_b32 s3, 0x7ff00000
	v_cndmask_b32_e32 v25, v26, v25, vcc
	v_cndmask_b32_e32 v24, v16, v24, vcc
	v_mul_f64 v[36:37], v[32:33], v[24:25]
	v_mul_f64 v[26:27], v[30:31], v[24:25]
	v_fma_f64 v[32:33], v[32:33], v[24:25], -v[36:37]
	v_add_f64 v[38:39], v[26:27], v[32:33]
	v_add_f64 v[54:55], v[38:39], -v[26:27]
	v_add_f64 v[32:33], v[32:33], -v[54:55]
	v_add_f64 v[54:55], v[38:39], -v[54:55]
	v_add_f64 v[54:55], v[26:27], -v[54:55]
	v_fma_f64 v[26:27], v[30:31], v[24:25], -v[26:27]
	v_mul_f64 v[30:31], v[28:29], v[24:25]
	v_add_f64 v[32:33], v[32:33], v[54:55]
	v_add_f64 v[54:55], v[30:31], v[26:27]
	;; [unrolled: 1-line block ×4, first 2 shown]
	v_ldexp_f64 v[50:51], v[48:49], -2
	v_add_f64 v[36:37], v[48:49], -v[36:37]
	v_add_f64 v[48:49], v[64:65], -v[54:55]
	;; [unrolled: 1-line block ×5, first 2 shown]
	v_add_f64 v[32:33], v[32:33], v[48:49]
	v_add_f64 v[48:49], v[54:55], -v[30:31]
	v_add_f64 v[26:27], v[26:27], -v[48:49]
	;; [unrolled: 1-line block ×4, first 2 shown]
	v_add_f64 v[26:27], v[26:27], v[48:49]
	v_fract_f64_e32 v[52:53], v[50:51]
	v_add_f64 v[26:27], v[26:27], v[32:33]
	v_fma_f64 v[24:25], v[28:29], v[24:25], -v[30:31]
	v_add_f64 v[36:37], v[38:39], -v[36:37]
	v_add_f64 v[24:25], v[24:25], v[26:27]
	v_ldexp_f64 v[26:27], v[52:53], 2
	v_cmp_neq_f64_e64 vcc, |v[50:51]|, s[2:3]
	v_add_f64 v[38:39], v[36:37], v[64:65]
	v_mov_b32_e32 v30, 0x40100000
	v_cndmask_b32_e32 v27, 0, v27, vcc
	v_cndmask_b32_e32 v26, 0, v26, vcc
	v_add_f64 v[28:29], v[38:39], v[26:27]
	v_cmp_gt_f64_e32 vcc, 0, v[28:29]
	v_mov_b32_e32 v28, 0
	v_add_f64 v[36:37], v[38:39], -v[36:37]
	v_cndmask_b32_e32 v29, 0, v30, vcc
	v_add_f64 v[26:27], v[26:27], v[28:29]
	v_add_f64 v[30:31], v[38:39], v[26:27]
	v_cvt_i32_f64_e32 v29, v[30:31]
	v_cvt_f64_i32_e32 v[30:31], v29
	v_add_f64 v[26:27], v[26:27], -v[30:31]
	v_add_f64 v[30:31], v[38:39], v[26:27]
	v_add_f64 v[36:37], v[64:65], -v[36:37]
	v_add_f64 v[26:27], v[30:31], -v[26:27]
	v_add_f64 v[24:25], v[36:37], v[24:25]
	v_add_f64 v[26:27], v[38:39], -v[26:27]
	v_add_f64 v[24:25], v[24:25], v[26:27]
	v_cmp_le_f64_e32 vcc, 0.5, v[30:31]
	v_mov_b32_e32 v26, 0x3ff00000
	s_mov_b32 s10, 0x33145c07
	v_addc_co_u32_e64 v35, s[2:3], 0, v29, vcc
	v_cndmask_b32_e32 v29, 0, v26, vcc
	v_add_f64 v[26:27], v[30:31], -v[28:29]
	v_add_f64 v[28:29], v[26:27], v[24:25]
	s_mov_b32 s2, 0x54442d18
	v_add_f64 v[26:27], v[28:29], -v[26:27]
	s_mov_b32 s3, 0x3ff921fb
	v_add_f64 v[24:25], v[24:25], -v[26:27]
	v_mul_f64 v[26:27], v[28:29], s[2:3]
	v_fma_f64 v[30:31], v[28:29], s[2:3], -v[26:27]
	s_mov_b32 s11, 0x3c91a626
	v_fmac_f64_e32 v[30:31], s[10:11], v[28:29]
	v_fmac_f64_e32 v[30:31], s[2:3], v[24:25]
	v_add_f64 v[24:25], v[26:27], v[30:31]
	v_add_f64 v[26:27], v[24:25], -v[26:27]
	v_add_f64 v[26:27], v[30:31], -v[26:27]
	s_andn2_saveexec_b64 s[2:3], s[8:9]
	s_cbranch_execnz .LBB0_41
	s_branch .LBB0_42
.LBB0_40:
	s_andn2_saveexec_b64 s[2:3], s[8:9]
	s_cbranch_execz .LBB0_42
.LBB0_41:
	s_mov_b32 s8, 0x6dc9c883
	s_mov_b32 s9, 0x3fe45f30
	v_mul_f64 v[24:25], |v[16:17]|, s[8:9]
	s_mov_b32 s8, 0x54442d18
	v_rndne_f64_e32 v[28:29], v[24:25]
	s_mov_b32 s9, 0xbff921fb
	v_fma_f64 v[24:25], v[28:29], s[8:9], |v[16:17]|
	s_mov_b32 s9, 0xbc91a626
	s_mov_b32 s8, 0x33145c00
	v_mul_f64 v[30:31], v[28:29], s[8:9]
	v_add_f64 v[36:37], v[24:25], v[30:31]
	v_fma_f64 v[26:27], s[8:9], v[28:29], v[24:25]
	s_mov_b32 s9, 0x3c91a626
	v_add_f64 v[24:25], v[24:25], -v[36:37]
	v_fma_f64 v[32:33], s[8:9], v[28:29], v[30:31]
	v_add_f64 v[24:25], v[24:25], v[30:31]
	v_add_f64 v[30:31], v[36:37], -v[26:27]
	v_add_f64 v[24:25], v[30:31], v[24:25]
	s_mov_b32 s8, 0x252049c0
	v_add_f64 v[30:31], v[24:25], -v[32:33]
	s_mov_b32 s9, 0xb97b839a
	v_fmac_f64_e32 v[30:31], s[8:9], v[28:29]
	v_add_f64 v[24:25], v[26:27], v[30:31]
	v_add_f64 v[26:27], v[24:25], -v[26:27]
	v_add_f64 v[26:27], v[30:31], -v[26:27]
	v_cvt_i32_f64_e32 v35, v[28:29]
.LBB0_42:
	s_or_b64 exec, exec, s[2:3]
	s_mov_b32 s2, 0
	s_mov_b32 s3, 0x40140000
	v_div_scale_f64 v[28:29], s[8:9], v[18:19], v[18:19], s[2:3]
	v_rcp_f64_e32 v[30:31], v[28:29]
	v_mov_b32_e32 v38, 0x5948aa83
	v_mov_b32_e32 v39, 0x3fb19fdd
	;; [unrolled: 1-line block ×3, first 2 shown]
	v_fma_f64 v[32:33], -v[28:29], v[30:31], 1.0
	v_fmac_f64_e32 v[30:31], v[30:31], v[32:33]
	v_fma_f64 v[32:33], -v[28:29], v[30:31], 1.0
	v_fmac_f64_e32 v[30:31], v[30:31], v[32:33]
	v_div_scale_f64 v[32:33], vcc, s[2:3], v[18:19], s[2:3]
	v_mul_f64 v[36:37], v[32:33], v[30:31]
	v_fma_f64 v[28:29], -v[28:29], v[36:37], v[32:33]
	v_mov_b32_e32 v32, 0x4c6c651b
	s_nop 0
	v_div_fmas_f64 v[28:29], v[28:29], v[30:31], v[36:37]
	v_div_fixup_f64 v[28:29], v[28:29], v[18:19], s[2:3]
	v_mul_f64 v[30:31], v[28:29], v[28:29]
	v_mov_b32_e32 v33, 0x3f48f92c
	v_fmac_f64_e32 v[32:33], 0, v[30:31]
	v_mov_b32_e32 v36, 0xa3fec4b6
	v_mov_b32_e32 v37, 0x3fb2b948
	v_fmac_f64_e32 v[36:37], v[30:31], v[32:33]
	v_mov_b32_e32 v32, 0xc21596d6
	;; [unrolled: 3-line block ×6, first 2 shown]
	v_mov_b32_e32 v33, 0x3f42b89b
	v_fmac_f64_e32 v[32:33], 0, v[30:31]
	v_fmac_f64_e32 v[38:39], v[30:31], v[32:33]
	v_mov_b32_e32 v32, 0xb850eed6
	v_mov_b32_e32 v33, 0x3ff1aea9
	v_fmac_f64_e32 v[32:33], v[30:31], v[38:39]
	v_mov_b32_e32 v38, 0xf7d251a1
	v_mov_b32_e32 v39, 0x40144ba2
	;; [unrolled: 3-line block ×4, first 2 shown]
	v_fmac_f64_e32 v[38:39], v[30:31], v[32:33]
	v_fma_f64 v[32:33], v[30:31], v[38:39], 1.0
	v_mov_b32_e32 v38, 0x6b70ba40
	v_mov_b32_e32 v39, 0x3faa27fa
	v_fmac_f64_e32 v[38:39], 0, v[30:31]
	v_mov_b32_e32 v49, 0x4013edb5
	v_fmac_f64_e32 v[48:49], v[30:31], v[38:39]
	v_mov_b32_e32 v38, 0x9acf1c67
	v_mov_b32_e32 v39, 0x4052f4b9
	v_fmac_f64_e32 v[38:39], v[30:31], v[48:49]
	v_mov_b32_e32 v48, 0x47aa180d
	;; [unrolled: 3-line block ×12, first 2 shown]
	v_mov_b32_e32 v51, 0x40a61462
	v_fma_f64 v[36:37], v[30:31], v[36:37], 1.0
	v_fmac_f64_e32 v[50:51], v[30:31], v[38:39]
	v_div_scale_f64 v[38:39], s[2:3], v[32:33], v[32:33], v[36:37]
	v_rcp_f64_e32 v[52:53], v[38:39]
	v_mov_b32_e32 v54, 0x6ae75997
	v_mov_b32_e32 v55, 0x4075017f
	v_fmac_f64_e32 v[54:55], v[30:31], v[50:51]
	v_fma_f64 v[30:31], -v[38:39], v[52:53], 1.0
	v_fmac_f64_e32 v[52:53], v[52:53], v[30:31]
	v_fma_f64 v[30:31], -v[38:39], v[52:53], 1.0
	v_fmac_f64_e32 v[52:53], v[52:53], v[30:31]
	v_div_scale_f64 v[30:31], vcc, v[36:37], v[32:33], v[36:37]
	v_mul_f64 v[50:51], v[30:31], v[52:53]
	v_fma_f64 v[30:31], -v[38:39], v[50:51], v[30:31]
	s_mov_b32 s2, 0x9037ab78
	s_nop 0
	v_div_fmas_f64 v[30:31], v[30:31], v[52:53], v[50:51]
	s_mov_b32 s3, 0x3e21eeb6
	s_mov_b32 s8, 0x46cc5e42
	v_div_fixup_f64 v[30:31], v[30:31], v[32:33], v[36:37]
	v_mul_f64 v[32:33], v[20:21], v[20:21]
	s_mov_b32 s9, 0xbda907db
	v_mov_b64_e32 v[52:53], s[2:3]
	s_mov_b32 s10, 0xa17f65f6
	v_mul_f64 v[36:37], v[32:33], 0.5
	v_fma_f64 v[64:65], s[8:9], v[32:33], v[52:53]
	s_mov_b32 s11, 0xbe927e4f
	s_mov_b32 s12, 0x19f4ec90
	v_add_f64 v[38:39], -v[36:37], 1.0
	v_fma_f64 v[64:65], v[32:33], v[64:65], s[10:11]
	s_mov_b32 s13, 0x3efa01a0
	s_mov_b32 s14, 0x16c16967
	v_add_f64 v[50:51], -v[38:39], 1.0
	v_fma_f64 v[64:65], v[32:33], v[64:65], s[12:13]
	s_mov_b32 s15, 0xbf56c16c
	s_mov_b32 s18, 0x55555555
	v_add_f64 v[36:37], v[50:51], -v[36:37]
	v_fma_f64 v[64:65], v[32:33], v[64:65], s[14:15]
	s_mov_b32 s19, 0x3fa55555
	v_mul_f64 v[50:51], v[32:33], v[32:33]
	v_fma_f64 v[64:65], v[32:33], v[64:65], s[18:19]
	v_fma_f64 v[36:37], v[20:21], -v[22:23], v[36:37]
	s_mov_b32 s2, 0xb42fdfa7
	v_fmac_f64_e32 v[36:37], v[50:51], v[64:65]
	s_mov_b32 s3, 0xbe5ae600
	s_mov_b32 s20, 0xf9a43bb8
	v_add_f64 v[36:37], v[38:39], v[36:37]
	s_mov_b32 s21, 0x3de5e0b2
	v_mov_b64_e32 v[38:39], s[2:3]
	s_mov_b32 s22, 0x796cde01
	v_fma_f64 v[50:51], s[20:21], v[32:33], v[38:39]
	s_mov_b32 s23, 0x3ec71de3
	s_mov_b32 s24, 0x19e83e5c
	v_fma_f64 v[50:51], v[32:33], v[50:51], s[22:23]
	s_mov_b32 s25, 0xbf2a01a0
	s_mov_b32 s26, 0x11110bb3
	v_fma_f64 v[50:51], v[32:33], v[50:51], s[24:25]
	s_mov_b32 s27, 0x3f811111
	v_fma_f64 v[50:51], v[32:33], v[50:51], s[26:27]
	v_mul_f64 v[64:65], v[20:21], -v[32:33]
	v_mul_f64 v[66:67], v[22:23], 0.5
	v_fmac_f64_e32 v[66:67], v[64:65], v[50:51]
	v_fma_f64 v[22:23], v[32:33], v[66:67], -v[22:23]
	s_mov_b32 s29, 0xbfc55555
	s_mov_b32 s28, s18
	v_fmac_f64_e32 v[22:23], s[28:29], v[64:65]
	v_add_f64 v[20:21], v[20:21], -v[22:23]
	v_and_b32_e32 v22, 1, v7
	v_cmp_eq_u32_e32 vcc, 0, v22
	v_lshlrev_b32_e32 v7, 30, v7
	v_xor_b32_e32 v7, v7, v17
	v_cndmask_b32_e32 v32, v36, v20, vcc
	v_cndmask_b32_e32 v20, v37, v21, vcc
	s_brev_b32 s17, 1
	v_bitop3_b32 v7, v20, v7, s17 bitop3:0x78
	v_div_scale_f64 v[20:21], s[2:3], v[54:55], v[54:55], v[48:49]
	v_rcp_f64_e32 v[22:23], v[20:21]
	s_movk_i32 s40, 0x1f8
	v_cmp_class_f64_e64 s[2:3], v[16:17], s40
	v_mov_b32_e32 v50, 0x7ff80000
	s_nop 0
	v_cndmask_b32_e64 v16, 0, v32, s[2:3]
	v_fma_f64 v[32:33], -v[20:21], v[22:23], 1.0
	v_fmac_f64_e32 v[22:23], v[22:23], v[32:33]
	v_fma_f64 v[32:33], -v[20:21], v[22:23], 1.0
	v_fmac_f64_e32 v[22:23], v[22:23], v[32:33]
	v_div_scale_f64 v[32:33], vcc, v[48:49], v[54:55], v[48:49]
	v_mul_f64 v[36:37], v[32:33], v[22:23]
	v_fma_f64 v[20:21], -v[20:21], v[36:37], v[32:33]
	v_cndmask_b32_e64 v17, v50, v7, s[2:3]
	s_nop 0
	v_div_fmas_f64 v[20:21], v[20:21], v[22:23], v[36:37]
	v_div_fixup_f64 v[20:21], v[20:21], v[54:55], v[48:49]
	v_mul_f64 v[22:23], v[24:25], v[24:25]
	v_mul_f64 v[20:21], v[28:29], v[20:21]
	v_mul_f64 v[28:29], v[22:23], 0.5
	v_fmac_f64_e32 v[52:53], s[8:9], v[22:23]
	v_add_f64 v[32:33], -v[28:29], 1.0
	v_fma_f64 v[48:49], v[22:23], v[52:53], s[10:11]
	v_add_f64 v[36:37], -v[32:33], 1.0
	v_fma_f64 v[48:49], v[22:23], v[48:49], s[12:13]
	v_add_f64 v[28:29], v[36:37], -v[28:29]
	v_fma_f64 v[48:49], v[22:23], v[48:49], s[14:15]
	v_mul_f64 v[36:37], v[22:23], v[22:23]
	v_fma_f64 v[48:49], v[22:23], v[48:49], s[18:19]
	v_fma_f64 v[28:29], v[24:25], -v[26:27], v[28:29]
	v_fmac_f64_e32 v[28:29], v[36:37], v[48:49]
	v_fmac_f64_e32 v[38:39], s[20:21], v[22:23]
	v_add_f64 v[28:29], v[32:33], v[28:29]
	v_fma_f64 v[32:33], v[22:23], v[38:39], s[22:23]
	v_fma_f64 v[32:33], v[22:23], v[32:33], s[24:25]
	;; [unrolled: 1-line block ×3, first 2 shown]
	v_mul_f64 v[36:37], v[24:25], -v[22:23]
	v_mul_f64 v[38:39], v[26:27], 0.5
	v_fmac_f64_e32 v[38:39], v[36:37], v[32:33]
	v_fma_f64 v[22:23], v[22:23], v[38:39], -v[26:27]
	v_fmac_f64_e32 v[22:23], s[28:29], v[36:37]
	v_add_f64 v[22:23], v[24:25], -v[22:23]
	v_xor_b32_e32 v7, 0x80000000, v23
	v_and_b32_e32 v23, 1, v35
	v_cmp_eq_u32_e32 vcc, 0, v23
	v_lshlrev_b32_e32 v23, 30, v35
	s_nop 0
	v_cndmask_b32_e32 v7, v7, v29, vcc
	v_cndmask_b32_e32 v22, v22, v28, vcc
	v_bitop3_b32 v7, v7, v23, s17 bitop3:0x78
	v_cndmask_b32_e64 v22, 0, v22, s[2:3]
	v_cndmask_b32_e64 v23, v50, v7, s[2:3]
	s_mov_b32 s2, 0
	s_brev_b32 s3, 8
	v_mov_b32_e32 v7, 0x100
	v_cmp_gt_f64_e32 vcc, s[2:3], v[18:19]
	v_mul_f64 v[20:21], v[20:21], v[22:23]
	v_fmac_f64_e32 v[20:21], v[30:31], v[16:17]
	v_cndmask_b32_e32 v7, 0, v7, vcc
	v_ldexp_f64 v[16:17], v[18:19], v7
	v_rsq_f64_e32 v[18:19], v[16:17]
	v_mov_b32_e32 v7, 0xffffff80
	v_cndmask_b32_e32 v7, 0, v7, vcc
	s_mov_b32 s2, 0x33d43651
	v_mul_f64 v[22:23], v[16:17], v[18:19]
	v_mul_f64 v[18:19], v[18:19], 0.5
	v_fma_f64 v[24:25], -v[18:19], v[22:23], 0.5
	v_fmac_f64_e32 v[22:23], v[22:23], v[24:25]
	v_fma_f64 v[26:27], -v[22:23], v[22:23], v[16:17]
	v_fmac_f64_e32 v[18:19], v[18:19], v[24:25]
	v_fmac_f64_e32 v[22:23], v[26:27], v[18:19]
	v_fma_f64 v[24:25], -v[22:23], v[22:23], v[16:17]
	v_fmac_f64_e32 v[22:23], v[24:25], v[18:19]
	v_ldexp_f64 v[18:19], v[22:23], v7
	v_mov_b32_e32 v7, 0x260
	s_mov_b32 s3, 0x3fe98845
	v_cmp_class_f64_e32 vcc, v[16:17], v7
	v_mul_f64 v[20:21], v[20:21], s[2:3]
	s_nop 0
	v_cndmask_b32_e32 v17, v19, v17, vcc
	v_cndmask_b32_e32 v16, v18, v16, vcc
	v_div_scale_f64 v[18:19], s[2:3], v[16:17], v[16:17], v[20:21]
	v_rcp_f64_e32 v[22:23], v[18:19]
	s_nop 0
	v_fma_f64 v[24:25], -v[18:19], v[22:23], 1.0
	v_fmac_f64_e32 v[22:23], v[22:23], v[24:25]
	v_fma_f64 v[24:25], -v[18:19], v[22:23], 1.0
	v_fmac_f64_e32 v[22:23], v[22:23], v[24:25]
	v_div_scale_f64 v[24:25], vcc, v[20:21], v[16:17], v[20:21]
	v_mul_f64 v[26:27], v[24:25], v[22:23]
	v_fma_f64 v[18:19], -v[18:19], v[26:27], v[24:25]
	s_nop 1
	v_div_fmas_f64 v[18:19], v[18:19], v[22:23], v[26:27]
	v_div_fixup_f64 v[16:17], v[18:19], v[16:17], v[20:21]
.LBB0_43:
	s_or_b64 exec, exec, s[6:7]
.LBB0_44:
	s_or_b64 exec, exec, s[4:5]
	v_add_u32_e32 v7, 0x200, v5
	v_cmp_lt_i32_e32 vcc, v7, v4
	s_and_saveexec_b64 s[4:5], vcc
	s_cbranch_execz .LBB0_62
; %bb.45:
	s_mov_b32 s2, 0
	s_mov_b32 s3, 0x40140000
	s_waitcnt vmcnt(0) lgkmcnt(0)
	v_cmp_ge_f64_e32 vcc, s[2:3], v[10:11]
	s_and_saveexec_b64 s[2:3], vcc
	s_xor_b64 s[2:3], exec, s[2:3]
                                        ; implicit-def: $vgpr14_vgpr15
	s_cbranch_execz .LBB0_51
; %bb.46:
	v_mov_b32_e32 v14, 0
	v_cmp_neq_f64_e32 vcc, 0, v[10:11]
	v_mov_b32_e32 v15, 0xfff00000
	s_and_saveexec_b64 s[6:7], vcc
	s_cbranch_execz .LBB0_50
; %bb.47:
	v_mov_b32_e32 v14, 0
	v_cmp_nge_f64_e32 vcc, 0, v[10:11]
	v_mov_b32_e32 v15, 0x7ff80000
	s_and_saveexec_b64 s[8:9], vcc
	s_cbranch_execz .LBB0_49
; %bb.48:
	v_mul_f64 v[14:15], v[10:11], v[10:11]
	v_mov_b32_e32 v18, 0x62f9b6c5
	v_mov_b32_e32 v19, 0x41d2d2be
	v_fmac_f64_e32 v[18:19], 0, v[14:15]
	v_mov_b32_e32 v20, 0x58836521
	v_mov_b32_e32 v21, 0xc262d72d
	v_fmac_f64_e32 v[20:21], v[14:15], v[18:19]
	;; [unrolled: 3-line block ×14, first 2 shown]
	v_div_scale_f64 v[18:19], s[10:11], v[22:23], v[22:23], v[20:21]
	v_rcp_f64_e32 v[24:25], v[18:19]
	v_mov_b32_e32 v30, 0xd438c6b
	v_mov_b32_e32 v31, 0x425a52ba
	;; [unrolled: 1-line block ×3, first 2 shown]
	v_fma_f64 v[26:27], -v[18:19], v[24:25], 1.0
	v_fmac_f64_e32 v[24:25], v[24:25], v[26:27]
	v_fma_f64 v[26:27], -v[18:19], v[24:25], 1.0
	v_fmac_f64_e32 v[24:25], v[24:25], v[26:27]
	v_div_scale_f64 v[26:27], vcc, v[20:21], v[22:23], v[20:21]
	v_mul_f64 v[28:29], v[26:27], v[24:25]
	v_fma_f64 v[18:19], -v[18:19], v[28:29], v[26:27]
	v_mov_b32_e32 v26, 0x4cda4fc5
	v_mov_b32_e32 v27, 0xc1cad23c
	v_fmac_f64_e32 v[26:27], 0, v[14:15]
	v_fmac_f64_e32 v[30:31], v[14:15], v[26:27]
	v_mov_b32_e32 v26, 0xe6ccf175
	v_mov_b32_e32 v27, 0xc2d08a92
	v_fmac_f64_e32 v[26:27], v[14:15], v[30:31]
	v_mov_b32_e32 v30, 0x1b7086e7
	v_mov_b32_e32 v31, 0x408366b1
	v_fmac_f64_e32 v[30:31], 0, v[14:15]
	v_mov_b32_e32 v33, 0x410f5eda
	v_fmac_f64_e32 v[32:33], v[14:15], v[30:31]
	v_mov_b32_e32 v30, 0xdc92a1b1
	v_mov_b32_e32 v31, 0x4193e954
	v_fmac_f64_e32 v[30:31], v[14:15], v[32:33]
	v_mov_b32_e32 v32, 0x7befeac1
	;; [unrolled: 3-line block ×7, first 2 shown]
	v_mov_b32_e32 v31, 0x432a2b42
	v_fmac_f64_e32 v[30:31], v[14:15], v[26:27]
	v_div_scale_f64 v[14:15], s[10:11], v[32:33], v[32:33], v[30:31]
	v_rcp_f64_e32 v[26:27], v[14:15]
	v_div_fmas_f64 v[18:19], v[18:19], v[24:25], v[28:29]
	v_div_fixup_f64 v[18:19], v[18:19], v[22:23], v[20:21]
	s_mov_b32 s10, 0x55555555
	v_fma_f64 v[20:21], -v[14:15], v[26:27], 1.0
	v_fmac_f64_e32 v[26:27], v[26:27], v[20:21]
	v_fma_f64 v[20:21], -v[14:15], v[26:27], 1.0
	v_fmac_f64_e32 v[26:27], v[26:27], v[20:21]
	v_div_scale_f64 v[20:21], vcc, v[30:31], v[32:33], v[30:31]
	v_mul_f64 v[22:23], v[20:21], v[26:27]
	v_fma_f64 v[14:15], -v[14:15], v[22:23], v[20:21]
	v_mov_b32_e32 v20, 0x4189822c
	s_nop 0
	v_div_fmas_f64 v[14:15], v[14:15], v[26:27], v[22:23]
	v_div_fixup_f64 v[14:15], v[14:15], v[32:33], v[30:31]
	v_mov_b32_e32 v21, 0xc02d5d2b
	v_mul_f64 v[14:15], v[10:11], v[14:15]
	v_fmac_f64_e32 v[20:21], v[10:11], v[10:11]
	v_mul_f64 v[14:15], v[20:21], v[14:15]
	v_mov_b32_e32 v20, 0x6072a432
	v_mov_b32_e32 v21, 0xc0489bf6
	v_fmac_f64_e32 v[20:21], v[10:11], v[10:11]
	v_mul_f64 v[14:15], v[20:21], v[14:15]
	v_frexp_mant_f64_e32 v[20:21], v[10:11]
	s_mov_b32 s11, 0x3fe55555
	v_cmp_gt_f64_e32 vcc, s[10:11], v[20:21]
	s_mov_b32 s10, 0xbf559e2b
	s_mov_b32 s11, 0x3fc3ab76
	v_cndmask_b32_e64 v22, 0, 1, vcc
	v_ldexp_f64 v[20:21], v[20:21], v22
	v_add_f64 v[22:23], v[20:21], 1.0
	v_rcp_f64_e32 v[24:25], v[22:23]
	v_add_f64 v[28:29], v[22:23], -1.0
	v_add_f64 v[26:27], v[20:21], -1.0
	v_add_f64 v[20:21], v[20:21], -v[28:29]
	v_fma_f64 v[28:29], -v[22:23], v[24:25], 1.0
	v_fmac_f64_e32 v[24:25], v[28:29], v[24:25]
	v_fma_f64 v[28:29], -v[22:23], v[24:25], 1.0
	v_fmac_f64_e32 v[24:25], v[28:29], v[24:25]
	v_mul_f64 v[28:29], v[26:27], v[24:25]
	v_mul_f64 v[30:31], v[22:23], v[28:29]
	v_fma_f64 v[22:23], v[28:29], v[22:23], -v[30:31]
	v_fmac_f64_e32 v[22:23], v[28:29], v[20:21]
	v_add_f64 v[20:21], v[30:31], v[22:23]
	v_add_f64 v[32:33], v[26:27], -v[20:21]
	v_add_f64 v[30:31], v[20:21], -v[30:31]
	;; [unrolled: 1-line block ×5, first 2 shown]
	v_add_f64 v[20:21], v[22:23], v[20:21]
	v_add_f64 v[20:21], v[32:33], v[20:21]
	v_mul_f64 v[20:21], v[24:25], v[20:21]
	v_add_f64 v[22:23], v[28:29], v[20:21]
	v_add_f64 v[24:25], v[22:23], -v[28:29]
	v_add_f64 v[20:21], v[20:21], -v[24:25]
	v_mul_f64 v[24:25], v[22:23], v[22:23]
	v_mov_b32_e32 v26, 0x6b47b09a
	v_mov_b32_e32 v27, 0x3fc38538
	v_fmac_f64_e32 v[26:27], s[10:11], v[24:25]
	v_mov_b32_e32 v28, 0xd7f4df2e
	v_mov_b32_e32 v29, 0x3fc7474d
	v_fmac_f64_e32 v[28:29], v[24:25], v[26:27]
	;; [unrolled: 3-line block ×6, first 2 shown]
	v_ldexp_f64 v[26:27], v[22:23], 1
	v_mul_f64 v[22:23], v[22:23], v[24:25]
	v_mul_f64 v[22:23], v[22:23], v[28:29]
	v_add_f64 v[24:25], v[26:27], v[22:23]
	v_add_f64 v[26:27], v[24:25], -v[26:27]
	v_ldexp_f64 v[20:21], v[20:21], 1
	v_add_f64 v[22:23], v[22:23], -v[26:27]
	v_add_f64 v[20:21], v[20:21], v[22:23]
	v_frexp_exp_i32_f64_e32 v7, v[10:11]
	v_add_f64 v[22:23], v[24:25], v[20:21]
	v_subbrev_co_u32_e32 v7, vcc, 0, v7, vcc
	v_add_f64 v[24:25], v[22:23], -v[24:25]
	s_mov_b32 s10, 0xfefa39ef
	v_add_f64 v[20:21], v[20:21], -v[24:25]
	v_cvt_f64_i32_e32 v[24:25], v7
	s_mov_b32 s11, 0x3fe62e42
	v_mul_f64 v[26:27], v[24:25], s[10:11]
	v_fma_f64 v[28:29], v[24:25], s[10:11], -v[26:27]
	s_mov_b32 s10, 0x3b39803f
	s_mov_b32 s11, 0x3c7abc9e
	v_fmac_f64_e32 v[28:29], s[10:11], v[24:25]
	v_add_f64 v[24:25], v[26:27], v[28:29]
	v_add_f64 v[26:27], v[24:25], -v[26:27]
	v_add_f64 v[26:27], v[28:29], -v[26:27]
	v_add_f64 v[28:29], v[24:25], v[22:23]
	v_add_f64 v[30:31], v[28:29], -v[24:25]
	v_add_f64 v[32:33], v[28:29], -v[30:31]
	;; [unrolled: 1-line block ×4, first 2 shown]
	v_add_f64 v[22:23], v[22:23], v[24:25]
	v_add_f64 v[24:25], v[26:27], v[20:21]
	v_add_f64 v[30:31], v[24:25], -v[26:27]
	v_add_f64 v[32:33], v[24:25], -v[30:31]
	v_add_f64 v[22:23], v[24:25], v[22:23]
	v_add_f64 v[26:27], v[26:27], -v[32:33]
	v_add_f64 v[20:21], v[20:21], -v[30:31]
	v_add_f64 v[24:25], v[28:29], v[22:23]
	v_add_f64 v[20:21], v[20:21], v[26:27]
	v_add_f64 v[26:27], v[24:25], -v[28:29]
	v_div_scale_f64 v[28:29], s[10:11], v[10:11], v[10:11], -1.0
	v_rcp_f64_e32 v[30:31], v[28:29]
	v_add_f64 v[22:23], v[22:23], -v[26:27]
	v_add_f64 v[20:21], v[20:21], v[22:23]
	v_add_f64 v[20:21], v[24:25], v[20:21]
	v_fma_f64 v[22:23], -v[28:29], v[30:31], 1.0
	v_fmac_f64_e32 v[30:31], v[30:31], v[22:23]
	v_fma_f64 v[22:23], -v[28:29], v[30:31], 1.0
	v_fmac_f64_e32 v[30:31], v[30:31], v[22:23]
	v_div_scale_f64 v[22:23], vcc, -1.0, v[10:11], -1.0
	v_mul_f64 v[24:25], v[22:23], v[30:31]
	v_fma_f64 v[22:23], -v[28:29], v[24:25], v[22:23]
	s_mov_b32 s10, 0x6dc9c883
	s_nop 0
	v_div_fmas_f64 v[22:23], v[22:23], v[30:31], v[24:25]
	v_div_fixup_f64 v[22:23], v[22:23], v[10:11], -1.0
	v_fmac_f64_e32 v[22:23], v[14:15], v[20:21]
	s_mov_b32 s11, 0x3fe45f30
	v_mul_f64 v[14:15], v[22:23], s[10:11]
	v_fmac_f64_e32 v[14:15], v[10:11], v[18:19]
.LBB0_49:
	s_or_b64 exec, exec, s[8:9]
.LBB0_50:
	s_or_b64 exec, exec, s[6:7]
                                        ; implicit-def: $vgpr10_vgpr11
.LBB0_51:
	s_andn2_saveexec_b64 s[6:7], s[2:3]
	s_cbranch_execz .LBB0_61
; %bb.52:
	s_mov_b32 s2, 0x7f3321d2
	s_mov_b32 s3, 0xc002d97c
	v_add_f64 v[14:15], v[10:11], s[2:3]
	s_mov_b32 s2, 0
	s_mov_b32 s3, 0x41d00000
	v_cmp_nlt_f64_e64 s[8:9], |v[14:15]|, s[2:3]
	v_trig_preop_f64 v[30:31], |v[14:15]|, 0
	v_trig_preop_f64 v[28:29], |v[14:15]|, 1
	;; [unrolled: 1-line block ×3, first 2 shown]
                                        ; implicit-def: $vgpr7
                                        ; implicit-def: $vgpr18_vgpr19
                                        ; implicit-def: $vgpr20_vgpr21
	s_and_saveexec_b64 s[2:3], s[8:9]
	s_xor_b64 s[10:11], exec, s[2:3]
	s_cbranch_execz .LBB0_54
; %bb.53:
	s_mov_b32 s2, 0
	s_mov_b32 s3, 0x7b000000
	s_movk_i32 s12, 0xff80
	v_and_b32_e32 v7, 0x7fffffff, v15
	v_ldexp_f64 v[18:19], |v[14:15]|, s12
	v_cmp_ge_f64_e64 vcc, |v[14:15]|, s[2:3]
	s_mov_b32 s2, 0
	s_mov_b32 s3, 0x7ff00000
	v_cndmask_b32_e32 v19, v7, v19, vcc
	v_cndmask_b32_e32 v18, v14, v18, vcc
	v_mul_f64 v[22:23], v[30:31], v[18:19]
	v_mul_f64 v[20:21], v[28:29], v[18:19]
	v_fma_f64 v[24:25], v[30:31], v[18:19], -v[22:23]
	v_add_f64 v[32:33], v[20:21], v[24:25]
	v_add_f64 v[50:51], v[32:33], -v[20:21]
	v_add_f64 v[24:25], v[24:25], -v[50:51]
	;; [unrolled: 1-line block ×4, first 2 shown]
	v_add_f64 v[24:25], v[24:25], v[50:51]
	v_fma_f64 v[20:21], v[28:29], v[18:19], -v[20:21]
	v_mul_f64 v[50:51], v[26:27], v[18:19]
	v_add_f64 v[52:53], v[50:51], v[20:21]
	v_add_f64 v[36:37], v[22:23], v[32:33]
	;; [unrolled: 1-line block ×3, first 2 shown]
	v_ldexp_f64 v[38:39], v[36:37], -2
	v_add_f64 v[22:23], v[36:37], -v[22:23]
	v_add_f64 v[36:37], v[54:55], -v[52:53]
	;; [unrolled: 1-line block ×5, first 2 shown]
	v_add_f64 v[24:25], v[24:25], v[36:37]
	v_add_f64 v[36:37], v[52:53], -v[50:51]
	v_add_f64 v[20:21], v[20:21], -v[36:37]
	;; [unrolled: 1-line block ×5, first 2 shown]
	v_add_f64 v[20:21], v[20:21], v[36:37]
	v_fract_f64_e32 v[48:49], v[38:39]
	v_add_f64 v[32:33], v[22:23], v[54:55]
	v_add_f64 v[20:21], v[20:21], v[24:25]
	v_fma_f64 v[18:19], v[26:27], v[18:19], -v[50:51]
	v_add_f64 v[22:23], v[32:33], -v[22:23]
	v_add_f64 v[18:19], v[18:19], v[20:21]
	v_ldexp_f64 v[20:21], v[48:49], 2
	v_cmp_neq_f64_e64 vcc, |v[38:39]|, s[2:3]
	v_add_f64 v[22:23], v[54:55], -v[22:23]
	v_add_f64 v[18:19], v[22:23], v[18:19]
	v_cndmask_b32_e32 v21, 0, v21, vcc
	v_cndmask_b32_e32 v20, 0, v20, vcc
	v_add_f64 v[22:23], v[32:33], v[20:21]
	v_mov_b32_e32 v7, 0x40100000
	v_cmp_gt_f64_e32 vcc, 0, v[22:23]
	v_mov_b32_e32 v22, 0
	s_mov_b32 s12, 0x33145c07
	v_cndmask_b32_e32 v23, 0, v7, vcc
	v_add_f64 v[20:21], v[20:21], v[22:23]
	v_add_f64 v[24:25], v[32:33], v[20:21]
	v_cvt_i32_f64_e32 v7, v[24:25]
	v_cvt_f64_i32_e32 v[24:25], v7
	v_add_f64 v[20:21], v[20:21], -v[24:25]
	v_add_f64 v[24:25], v[32:33], v[20:21]
	v_add_f64 v[20:21], v[24:25], -v[20:21]
	v_add_f64 v[20:21], v[32:33], -v[20:21]
	v_add_f64 v[18:19], v[18:19], v[20:21]
	v_cmp_le_f64_e32 vcc, 0.5, v[24:25]
	v_mov_b32_e32 v20, 0x3ff00000
	s_mov_b32 s13, 0x3c91a626
	v_cndmask_b32_e32 v23, 0, v20, vcc
	v_addc_co_u32_e64 v7, s[2:3], 0, v7, vcc
	v_add_f64 v[20:21], v[24:25], -v[22:23]
	v_add_f64 v[22:23], v[20:21], v[18:19]
	s_mov_b32 s2, 0x54442d18
	v_add_f64 v[20:21], v[22:23], -v[20:21]
	s_mov_b32 s3, 0x3ff921fb
	v_add_f64 v[18:19], v[18:19], -v[20:21]
	v_mul_f64 v[20:21], v[22:23], s[2:3]
	v_fma_f64 v[24:25], v[22:23], s[2:3], -v[20:21]
	v_fmac_f64_e32 v[24:25], s[12:13], v[22:23]
	v_fmac_f64_e32 v[24:25], s[2:3], v[18:19]
	v_add_f64 v[18:19], v[20:21], v[24:25]
	v_add_f64 v[20:21], v[18:19], -v[20:21]
	v_add_f64 v[20:21], v[24:25], -v[20:21]
	s_andn2_saveexec_b64 s[2:3], s[10:11]
	s_cbranch_execz .LBB0_56
	s_branch .LBB0_55
.LBB0_54:
	s_andn2_saveexec_b64 s[2:3], s[10:11]
	s_cbranch_execz .LBB0_56
.LBB0_55:
	s_mov_b32 s10, 0x6dc9c883
	s_mov_b32 s11, 0x3fe45f30
	v_mul_f64 v[18:19], |v[14:15]|, s[10:11]
	s_mov_b32 s10, 0x54442d18
	v_rndne_f64_e32 v[22:23], v[18:19]
	s_mov_b32 s11, 0xbff921fb
	v_fma_f64 v[18:19], v[22:23], s[10:11], |v[14:15]|
	s_mov_b32 s11, 0xbc91a626
	s_mov_b32 s10, 0x33145c00
	v_mul_f64 v[24:25], v[22:23], s[10:11]
	v_add_f64 v[36:37], v[18:19], v[24:25]
	v_fma_f64 v[20:21], s[10:11], v[22:23], v[18:19]
	s_mov_b32 s11, 0x3c91a626
	v_add_f64 v[18:19], v[18:19], -v[36:37]
	v_fma_f64 v[32:33], s[10:11], v[22:23], v[24:25]
	v_add_f64 v[18:19], v[18:19], v[24:25]
	v_add_f64 v[24:25], v[36:37], -v[20:21]
	v_add_f64 v[18:19], v[24:25], v[18:19]
	s_mov_b32 s10, 0x252049c0
	v_add_f64 v[24:25], v[18:19], -v[32:33]
	s_mov_b32 s11, 0xb97b839a
	v_fmac_f64_e32 v[24:25], s[10:11], v[22:23]
	v_add_f64 v[18:19], v[20:21], v[24:25]
	v_add_f64 v[20:21], v[18:19], -v[20:21]
	v_add_f64 v[20:21], v[24:25], -v[20:21]
	v_cvt_i32_f64_e32 v7, v[22:23]
.LBB0_56:
	s_or_b64 exec, exec, s[2:3]
                                        ; implicit-def: $vgpr32
                                        ; implicit-def: $vgpr22_vgpr23
                                        ; implicit-def: $vgpr24_vgpr25
	s_and_saveexec_b64 s[2:3], s[8:9]
	s_xor_b64 s[8:9], exec, s[2:3]
	s_cbranch_execz .LBB0_58
; %bb.57:
	s_mov_b32 s2, 0
	s_mov_b32 s3, 0x7b000000
	s_movk_i32 s10, 0xff80
	v_and_b32_e32 v24, 0x7fffffff, v15
	v_ldexp_f64 v[22:23], |v[14:15]|, s10
	v_cmp_ge_f64_e64 vcc, |v[14:15]|, s[2:3]
	s_mov_b32 s2, 0
	s_mov_b32 s3, 0x7ff00000
	v_cndmask_b32_e32 v23, v24, v23, vcc
	v_cndmask_b32_e32 v22, v14, v22, vcc
	v_mul_f64 v[32:33], v[30:31], v[22:23]
	v_mul_f64 v[24:25], v[28:29], v[22:23]
	v_fma_f64 v[30:31], v[30:31], v[22:23], -v[32:33]
	v_add_f64 v[36:37], v[24:25], v[30:31]
	v_add_f64 v[52:53], v[36:37], -v[24:25]
	v_add_f64 v[30:31], v[30:31], -v[52:53]
	;; [unrolled: 1-line block ×4, first 2 shown]
	v_fma_f64 v[24:25], v[28:29], v[22:23], -v[24:25]
	v_mul_f64 v[28:29], v[26:27], v[22:23]
	v_add_f64 v[30:31], v[30:31], v[52:53]
	v_add_f64 v[52:53], v[28:29], v[24:25]
	;; [unrolled: 1-line block ×4, first 2 shown]
	v_ldexp_f64 v[48:49], v[38:39], -2
	v_add_f64 v[32:33], v[38:39], -v[32:33]
	v_add_f64 v[38:39], v[54:55], -v[52:53]
	;; [unrolled: 1-line block ×5, first 2 shown]
	v_add_f64 v[30:31], v[30:31], v[38:39]
	v_add_f64 v[38:39], v[52:53], -v[28:29]
	v_add_f64 v[24:25], v[24:25], -v[38:39]
	;; [unrolled: 1-line block ×4, first 2 shown]
	v_add_f64 v[24:25], v[24:25], v[38:39]
	v_fract_f64_e32 v[50:51], v[48:49]
	v_add_f64 v[24:25], v[24:25], v[30:31]
	v_fma_f64 v[22:23], v[26:27], v[22:23], -v[28:29]
	v_add_f64 v[32:33], v[36:37], -v[32:33]
	v_add_f64 v[22:23], v[22:23], v[24:25]
	v_ldexp_f64 v[24:25], v[50:51], 2
	v_cmp_neq_f64_e64 vcc, |v[48:49]|, s[2:3]
	v_add_f64 v[36:37], v[32:33], v[54:55]
	v_mov_b32_e32 v28, 0x40100000
	v_cndmask_b32_e32 v25, 0, v25, vcc
	v_cndmask_b32_e32 v24, 0, v24, vcc
	v_add_f64 v[26:27], v[36:37], v[24:25]
	v_cmp_gt_f64_e32 vcc, 0, v[26:27]
	v_mov_b32_e32 v26, 0
	v_add_f64 v[32:33], v[36:37], -v[32:33]
	v_cndmask_b32_e32 v27, 0, v28, vcc
	v_add_f64 v[24:25], v[24:25], v[26:27]
	v_add_f64 v[28:29], v[36:37], v[24:25]
	v_cvt_i32_f64_e32 v27, v[28:29]
	v_cvt_f64_i32_e32 v[28:29], v27
	v_add_f64 v[24:25], v[24:25], -v[28:29]
	v_add_f64 v[28:29], v[36:37], v[24:25]
	v_add_f64 v[32:33], v[54:55], -v[32:33]
	v_add_f64 v[24:25], v[28:29], -v[24:25]
	v_add_f64 v[22:23], v[32:33], v[22:23]
	v_add_f64 v[24:25], v[36:37], -v[24:25]
	v_add_f64 v[22:23], v[22:23], v[24:25]
	v_cmp_le_f64_e32 vcc, 0.5, v[28:29]
	v_mov_b32_e32 v24, 0x3ff00000
	s_mov_b32 s10, 0x33145c07
	v_addc_co_u32_e64 v32, s[2:3], 0, v27, vcc
	v_cndmask_b32_e32 v27, 0, v24, vcc
	v_add_f64 v[24:25], v[28:29], -v[26:27]
	v_add_f64 v[26:27], v[24:25], v[22:23]
	s_mov_b32 s2, 0x54442d18
	v_add_f64 v[24:25], v[26:27], -v[24:25]
	s_mov_b32 s3, 0x3ff921fb
	v_add_f64 v[22:23], v[22:23], -v[24:25]
	v_mul_f64 v[24:25], v[26:27], s[2:3]
	v_fma_f64 v[28:29], v[26:27], s[2:3], -v[24:25]
	s_mov_b32 s11, 0x3c91a626
	v_fmac_f64_e32 v[28:29], s[10:11], v[26:27]
	v_fmac_f64_e32 v[28:29], s[2:3], v[22:23]
	v_add_f64 v[22:23], v[24:25], v[28:29]
	v_add_f64 v[24:25], v[22:23], -v[24:25]
	v_add_f64 v[24:25], v[28:29], -v[24:25]
	s_andn2_saveexec_b64 s[2:3], s[8:9]
	s_cbranch_execnz .LBB0_59
	s_branch .LBB0_60
.LBB0_58:
	s_andn2_saveexec_b64 s[2:3], s[8:9]
	s_cbranch_execz .LBB0_60
.LBB0_59:
	s_mov_b32 s8, 0x6dc9c883
	s_mov_b32 s9, 0x3fe45f30
	v_mul_f64 v[22:23], |v[14:15]|, s[8:9]
	s_mov_b32 s8, 0x54442d18
	v_rndne_f64_e32 v[26:27], v[22:23]
	s_mov_b32 s9, 0xbff921fb
	v_fma_f64 v[22:23], v[26:27], s[8:9], |v[14:15]|
	s_mov_b32 s9, 0xbc91a626
	s_mov_b32 s8, 0x33145c00
	v_mul_f64 v[28:29], v[26:27], s[8:9]
	v_add_f64 v[32:33], v[22:23], v[28:29]
	v_fma_f64 v[24:25], s[8:9], v[26:27], v[22:23]
	s_mov_b32 s9, 0x3c91a626
	v_add_f64 v[22:23], v[22:23], -v[32:33]
	v_fma_f64 v[30:31], s[8:9], v[26:27], v[28:29]
	v_add_f64 v[22:23], v[22:23], v[28:29]
	v_add_f64 v[28:29], v[32:33], -v[24:25]
	v_add_f64 v[22:23], v[28:29], v[22:23]
	s_mov_b32 s8, 0x252049c0
	v_add_f64 v[28:29], v[22:23], -v[30:31]
	s_mov_b32 s9, 0xb97b839a
	v_fmac_f64_e32 v[28:29], s[8:9], v[26:27]
	v_add_f64 v[22:23], v[24:25], v[28:29]
	v_add_f64 v[24:25], v[22:23], -v[24:25]
	v_add_f64 v[24:25], v[28:29], -v[24:25]
	v_cvt_i32_f64_e32 v32, v[26:27]
.LBB0_60:
	s_or_b64 exec, exec, s[2:3]
	s_mov_b32 s2, 0
	s_mov_b32 s3, 0x40140000
	v_div_scale_f64 v[26:27], s[8:9], v[10:11], v[10:11], s[2:3]
	v_rcp_f64_e32 v[28:29], v[26:27]
	v_mov_b32_e32 v38, 0x5948aa83
	v_mov_b32_e32 v39, 0x3fb19fdd
	;; [unrolled: 1-line block ×3, first 2 shown]
	v_fma_f64 v[30:31], -v[26:27], v[28:29], 1.0
	v_fmac_f64_e32 v[28:29], v[28:29], v[30:31]
	v_fma_f64 v[30:31], -v[26:27], v[28:29], 1.0
	v_fmac_f64_e32 v[28:29], v[28:29], v[30:31]
	v_div_scale_f64 v[30:31], vcc, s[2:3], v[10:11], s[2:3]
	v_mul_f64 v[36:37], v[30:31], v[28:29]
	v_fma_f64 v[26:27], -v[26:27], v[36:37], v[30:31]
	v_mov_b32_e32 v30, 0x4c6c651b
	s_nop 0
	v_div_fmas_f64 v[26:27], v[26:27], v[28:29], v[36:37]
	v_div_fixup_f64 v[26:27], v[26:27], v[10:11], s[2:3]
	v_mul_f64 v[28:29], v[26:27], v[26:27]
	v_mov_b32_e32 v31, 0x3f48f92c
	v_fmac_f64_e32 v[30:31], 0, v[28:29]
	v_mov_b32_e32 v36, 0xa3fec4b6
	v_mov_b32_e32 v37, 0x3fb2b948
	v_fmac_f64_e32 v[36:37], v[28:29], v[30:31]
	v_mov_b32_e32 v30, 0xc21596d6
	;; [unrolled: 3-line block ×6, first 2 shown]
	v_mov_b32_e32 v31, 0x3f42b89b
	v_fmac_f64_e32 v[30:31], 0, v[28:29]
	v_fmac_f64_e32 v[38:39], v[28:29], v[30:31]
	v_mov_b32_e32 v30, 0xb850eed6
	v_mov_b32_e32 v31, 0x3ff1aea9
	v_fmac_f64_e32 v[30:31], v[28:29], v[38:39]
	v_mov_b32_e32 v38, 0xf7d251a1
	v_mov_b32_e32 v39, 0x40144ba2
	;; [unrolled: 3-line block ×4, first 2 shown]
	v_fmac_f64_e32 v[38:39], v[28:29], v[30:31]
	v_fma_f64 v[30:31], v[28:29], v[38:39], 1.0
	v_mov_b32_e32 v38, 0x6b70ba40
	v_mov_b32_e32 v39, 0x3faa27fa
	v_fmac_f64_e32 v[38:39], 0, v[28:29]
	v_mov_b32_e32 v49, 0x4013edb5
	v_fmac_f64_e32 v[48:49], v[28:29], v[38:39]
	v_mov_b32_e32 v38, 0x9acf1c67
	v_mov_b32_e32 v39, 0x4052f4b9
	v_fmac_f64_e32 v[38:39], v[28:29], v[48:49]
	v_mov_b32_e32 v48, 0x47aa180d
	;; [unrolled: 3-line block ×12, first 2 shown]
	v_mov_b32_e32 v51, 0x40a61462
	v_fma_f64 v[36:37], v[28:29], v[36:37], 1.0
	v_fmac_f64_e32 v[50:51], v[28:29], v[38:39]
	v_div_scale_f64 v[38:39], s[2:3], v[30:31], v[30:31], v[36:37]
	v_rcp_f64_e32 v[52:53], v[38:39]
	v_mov_b32_e32 v54, 0x6ae75997
	v_mov_b32_e32 v55, 0x4075017f
	v_fmac_f64_e32 v[54:55], v[28:29], v[50:51]
	v_fma_f64 v[28:29], -v[38:39], v[52:53], 1.0
	v_fmac_f64_e32 v[52:53], v[52:53], v[28:29]
	v_fma_f64 v[28:29], -v[38:39], v[52:53], 1.0
	v_fmac_f64_e32 v[52:53], v[52:53], v[28:29]
	v_div_scale_f64 v[28:29], vcc, v[36:37], v[30:31], v[36:37]
	v_mul_f64 v[50:51], v[28:29], v[52:53]
	v_fma_f64 v[28:29], -v[38:39], v[50:51], v[28:29]
	s_mov_b32 s2, 0x9037ab78
	s_nop 0
	v_div_fmas_f64 v[28:29], v[28:29], v[52:53], v[50:51]
	s_mov_b32 s3, 0x3e21eeb6
	s_mov_b32 s8, 0x46cc5e42
	v_div_fixup_f64 v[28:29], v[28:29], v[30:31], v[36:37]
	v_mul_f64 v[30:31], v[18:19], v[18:19]
	s_mov_b32 s9, 0xbda907db
	v_mov_b64_e32 v[52:53], s[2:3]
	s_mov_b32 s10, 0xa17f65f6
	v_mul_f64 v[36:37], v[30:31], 0.5
	v_fma_f64 v[64:65], s[8:9], v[30:31], v[52:53]
	s_mov_b32 s11, 0xbe927e4f
	s_mov_b32 s12, 0x19f4ec90
	v_add_f64 v[38:39], -v[36:37], 1.0
	v_fma_f64 v[64:65], v[30:31], v[64:65], s[10:11]
	s_mov_b32 s13, 0x3efa01a0
	s_mov_b32 s14, 0x16c16967
	v_add_f64 v[50:51], -v[38:39], 1.0
	v_fma_f64 v[64:65], v[30:31], v[64:65], s[12:13]
	s_mov_b32 s15, 0xbf56c16c
	s_mov_b32 s18, 0x55555555
	v_add_f64 v[36:37], v[50:51], -v[36:37]
	v_fma_f64 v[64:65], v[30:31], v[64:65], s[14:15]
	s_mov_b32 s19, 0x3fa55555
	v_mul_f64 v[50:51], v[30:31], v[30:31]
	v_fma_f64 v[64:65], v[30:31], v[64:65], s[18:19]
	v_fma_f64 v[36:37], v[18:19], -v[20:21], v[36:37]
	s_mov_b32 s2, 0xb42fdfa7
	v_fmac_f64_e32 v[36:37], v[50:51], v[64:65]
	s_mov_b32 s3, 0xbe5ae600
	s_mov_b32 s20, 0xf9a43bb8
	v_add_f64 v[36:37], v[38:39], v[36:37]
	s_mov_b32 s21, 0x3de5e0b2
	v_mov_b64_e32 v[38:39], s[2:3]
	s_mov_b32 s22, 0x796cde01
	v_fma_f64 v[50:51], s[20:21], v[30:31], v[38:39]
	s_mov_b32 s23, 0x3ec71de3
	s_mov_b32 s24, 0x19e83e5c
	v_fma_f64 v[50:51], v[30:31], v[50:51], s[22:23]
	s_mov_b32 s25, 0xbf2a01a0
	;; [unrolled: 3-line block ×3, first 2 shown]
	v_fma_f64 v[50:51], v[30:31], v[50:51], s[26:27]
	v_mul_f64 v[64:65], v[18:19], -v[30:31]
	v_mul_f64 v[66:67], v[20:21], 0.5
	v_fmac_f64_e32 v[66:67], v[64:65], v[50:51]
	v_fma_f64 v[20:21], v[30:31], v[66:67], -v[20:21]
	s_mov_b32 s29, 0xbfc55555
	s_mov_b32 s28, s18
	v_fmac_f64_e32 v[20:21], s[28:29], v[64:65]
	v_add_f64 v[18:19], v[18:19], -v[20:21]
	v_and_b32_e32 v20, 1, v7
	v_cmp_eq_u32_e32 vcc, 0, v20
	v_lshlrev_b32_e32 v7, 30, v7
	v_xor_b32_e32 v7, v7, v15
	v_cndmask_b32_e32 v30, v36, v18, vcc
	v_cndmask_b32_e32 v18, v37, v19, vcc
	s_brev_b32 s17, 1
	v_bitop3_b32 v7, v18, v7, s17 bitop3:0x78
	v_div_scale_f64 v[18:19], s[2:3], v[54:55], v[54:55], v[48:49]
	v_rcp_f64_e32 v[20:21], v[18:19]
	s_movk_i32 s40, 0x1f8
	v_cmp_class_f64_e64 s[2:3], v[14:15], s40
	v_mov_b32_e32 v33, 0x7ff80000
	s_nop 0
	v_cndmask_b32_e64 v14, 0, v30, s[2:3]
	v_fma_f64 v[30:31], -v[18:19], v[20:21], 1.0
	v_fmac_f64_e32 v[20:21], v[20:21], v[30:31]
	v_fma_f64 v[30:31], -v[18:19], v[20:21], 1.0
	v_fmac_f64_e32 v[20:21], v[20:21], v[30:31]
	v_div_scale_f64 v[30:31], vcc, v[48:49], v[54:55], v[48:49]
	v_mul_f64 v[36:37], v[30:31], v[20:21]
	v_fma_f64 v[18:19], -v[18:19], v[36:37], v[30:31]
	v_cndmask_b32_e64 v15, v33, v7, s[2:3]
	s_nop 0
	v_div_fmas_f64 v[18:19], v[18:19], v[20:21], v[36:37]
	v_div_fixup_f64 v[18:19], v[18:19], v[54:55], v[48:49]
	v_mul_f64 v[20:21], v[22:23], v[22:23]
	v_mul_f64 v[18:19], v[26:27], v[18:19]
	v_mul_f64 v[26:27], v[20:21], 0.5
	v_fmac_f64_e32 v[52:53], s[8:9], v[20:21]
	v_add_f64 v[30:31], -v[26:27], 1.0
	v_fma_f64 v[48:49], v[20:21], v[52:53], s[10:11]
	v_add_f64 v[36:37], -v[30:31], 1.0
	v_fma_f64 v[48:49], v[20:21], v[48:49], s[12:13]
	v_add_f64 v[26:27], v[36:37], -v[26:27]
	v_fma_f64 v[48:49], v[20:21], v[48:49], s[14:15]
	v_mul_f64 v[36:37], v[20:21], v[20:21]
	v_fma_f64 v[48:49], v[20:21], v[48:49], s[18:19]
	v_fma_f64 v[26:27], v[22:23], -v[24:25], v[26:27]
	v_fmac_f64_e32 v[26:27], v[36:37], v[48:49]
	v_fmac_f64_e32 v[38:39], s[20:21], v[20:21]
	v_add_f64 v[26:27], v[30:31], v[26:27]
	v_fma_f64 v[30:31], v[20:21], v[38:39], s[22:23]
	v_fma_f64 v[30:31], v[20:21], v[30:31], s[24:25]
	v_fma_f64 v[30:31], v[20:21], v[30:31], s[26:27]
	v_mul_f64 v[36:37], v[22:23], -v[20:21]
	v_mul_f64 v[38:39], v[24:25], 0.5
	v_fmac_f64_e32 v[38:39], v[36:37], v[30:31]
	v_fma_f64 v[20:21], v[20:21], v[38:39], -v[24:25]
	v_fmac_f64_e32 v[20:21], s[28:29], v[36:37]
	v_add_f64 v[20:21], v[22:23], -v[20:21]
	v_xor_b32_e32 v7, 0x80000000, v21
	v_and_b32_e32 v21, 1, v32
	v_cmp_eq_u32_e32 vcc, 0, v21
	v_lshlrev_b32_e32 v21, 30, v32
	s_nop 0
	v_cndmask_b32_e32 v7, v7, v27, vcc
	v_cndmask_b32_e32 v20, v20, v26, vcc
	v_bitop3_b32 v7, v7, v21, s17 bitop3:0x78
	v_cndmask_b32_e64 v20, 0, v20, s[2:3]
	v_cndmask_b32_e64 v21, v33, v7, s[2:3]
	s_mov_b32 s2, 0
	s_brev_b32 s3, 8
	v_mov_b32_e32 v7, 0x100
	v_cmp_gt_f64_e32 vcc, s[2:3], v[10:11]
	v_mul_f64 v[18:19], v[18:19], v[20:21]
	v_fmac_f64_e32 v[18:19], v[28:29], v[14:15]
	v_cndmask_b32_e32 v7, 0, v7, vcc
	v_ldexp_f64 v[10:11], v[10:11], v7
	v_rsq_f64_e32 v[14:15], v[10:11]
	v_mov_b32_e32 v7, 0xffffff80
	v_cndmask_b32_e32 v7, 0, v7, vcc
	s_mov_b32 s2, 0x33d43651
	v_mul_f64 v[20:21], v[10:11], v[14:15]
	v_mul_f64 v[14:15], v[14:15], 0.5
	v_fma_f64 v[22:23], -v[14:15], v[20:21], 0.5
	v_fmac_f64_e32 v[20:21], v[20:21], v[22:23]
	v_fma_f64 v[24:25], -v[20:21], v[20:21], v[10:11]
	v_fmac_f64_e32 v[14:15], v[14:15], v[22:23]
	v_fmac_f64_e32 v[20:21], v[24:25], v[14:15]
	v_fma_f64 v[22:23], -v[20:21], v[20:21], v[10:11]
	v_fmac_f64_e32 v[20:21], v[22:23], v[14:15]
	v_ldexp_f64 v[14:15], v[20:21], v7
	v_mov_b32_e32 v7, 0x260
	s_mov_b32 s3, 0x3fe98845
	v_cmp_class_f64_e32 vcc, v[10:11], v7
	v_mul_f64 v[18:19], v[18:19], s[2:3]
	s_nop 0
	v_cndmask_b32_e32 v11, v15, v11, vcc
	v_cndmask_b32_e32 v10, v14, v10, vcc
	v_div_scale_f64 v[14:15], s[2:3], v[10:11], v[10:11], v[18:19]
	v_rcp_f64_e32 v[20:21], v[14:15]
	s_nop 0
	v_fma_f64 v[22:23], -v[14:15], v[20:21], 1.0
	v_fmac_f64_e32 v[20:21], v[20:21], v[22:23]
	v_fma_f64 v[22:23], -v[14:15], v[20:21], 1.0
	v_fmac_f64_e32 v[20:21], v[20:21], v[22:23]
	v_div_scale_f64 v[22:23], vcc, v[18:19], v[10:11], v[18:19]
	v_mul_f64 v[24:25], v[22:23], v[20:21]
	v_fma_f64 v[14:15], -v[14:15], v[24:25], v[22:23]
	s_nop 1
	v_div_fmas_f64 v[14:15], v[14:15], v[20:21], v[24:25]
	v_div_fixup_f64 v[14:15], v[14:15], v[10:11], v[18:19]
.LBB0_61:
	s_or_b64 exec, exec, s[6:7]
.LBB0_62:
	s_or_b64 exec, exec, s[4:5]
	v_add_u32_e32 v7, 0x300, v5
	v_cmp_lt_i32_e32 vcc, v7, v4
	s_and_saveexec_b64 s[4:5], vcc
	s_cbranch_execz .LBB0_72
; %bb.63:
	s_mov_b32 s2, 0
	s_mov_b32 s3, 0x40140000
	s_waitcnt vmcnt(0) lgkmcnt(0)
	v_cmp_ge_f64_e32 vcc, s[2:3], v[8:9]
	s_and_saveexec_b64 s[2:3], vcc
	s_xor_b64 s[2:3], exec, s[2:3]
                                        ; implicit-def: $vgpr12_vgpr13
	s_cbranch_execz .LBB0_69
; %bb.64:
	v_mov_b32_e32 v12, 0
	v_cmp_neq_f64_e32 vcc, 0, v[8:9]
	v_mov_b32_e32 v13, 0xfff00000
	s_and_saveexec_b64 s[6:7], vcc
	s_cbranch_execz .LBB0_68
; %bb.65:
	v_mov_b32_e32 v12, 0
	v_cmp_nge_f64_e32 vcc, 0, v[8:9]
	v_mov_b32_e32 v13, 0x7ff80000
	s_and_saveexec_b64 s[8:9], vcc
	s_cbranch_execz .LBB0_67
; %bb.66:
	v_mul_f64 v[10:11], v[8:9], v[8:9]
	v_mov_b32_e32 v12, 0x62f9b6c5
	v_mov_b32_e32 v13, 0x41d2d2be
	v_fmac_f64_e32 v[12:13], 0, v[10:11]
	v_mov_b32_e32 v18, 0x58836521
	v_mov_b32_e32 v19, 0xc262d72d
	v_fmac_f64_e32 v[18:19], v[10:11], v[12:13]
	;; [unrolled: 3-line block ×14, first 2 shown]
	v_div_scale_f64 v[12:13], s[10:11], v[20:21], v[20:21], v[18:19]
	v_rcp_f64_e32 v[22:23], v[12:13]
	v_mov_b32_e32 v28, 0xd438c6b
	v_mov_b32_e32 v29, 0x425a52ba
	;; [unrolled: 1-line block ×3, first 2 shown]
	v_fma_f64 v[24:25], -v[12:13], v[22:23], 1.0
	v_fmac_f64_e32 v[22:23], v[22:23], v[24:25]
	v_fma_f64 v[24:25], -v[12:13], v[22:23], 1.0
	v_fmac_f64_e32 v[22:23], v[22:23], v[24:25]
	v_div_scale_f64 v[24:25], vcc, v[18:19], v[20:21], v[18:19]
	v_mul_f64 v[26:27], v[24:25], v[22:23]
	v_fma_f64 v[12:13], -v[12:13], v[26:27], v[24:25]
	v_mov_b32_e32 v24, 0x4cda4fc5
	v_mov_b32_e32 v25, 0xc1cad23c
	v_fmac_f64_e32 v[24:25], 0, v[10:11]
	v_fmac_f64_e32 v[28:29], v[10:11], v[24:25]
	v_mov_b32_e32 v24, 0xe6ccf175
	v_mov_b32_e32 v25, 0xc2d08a92
	v_fmac_f64_e32 v[24:25], v[10:11], v[28:29]
	v_mov_b32_e32 v28, 0x1b7086e7
	v_mov_b32_e32 v29, 0x408366b1
	v_fmac_f64_e32 v[28:29], 0, v[10:11]
	v_mov_b32_e32 v31, 0x410f5eda
	v_fmac_f64_e32 v[30:31], v[10:11], v[28:29]
	v_mov_b32_e32 v28, 0xdc92a1b1
	v_mov_b32_e32 v29, 0x4193e954
	v_fmac_f64_e32 v[28:29], v[10:11], v[30:31]
	v_mov_b32_e32 v30, 0x7befeac1
	;; [unrolled: 3-line block ×7, first 2 shown]
	v_mov_b32_e32 v29, 0x432a2b42
	v_fmac_f64_e32 v[28:29], v[10:11], v[24:25]
	v_div_scale_f64 v[10:11], s[10:11], v[30:31], v[30:31], v[28:29]
	v_rcp_f64_e32 v[24:25], v[10:11]
	v_div_fmas_f64 v[12:13], v[12:13], v[22:23], v[26:27]
	v_div_fixup_f64 v[18:19], v[12:13], v[20:21], v[18:19]
	s_mov_b32 s10, 0x55555555
	v_fma_f64 v[12:13], -v[10:11], v[24:25], 1.0
	v_fmac_f64_e32 v[24:25], v[24:25], v[12:13]
	v_fma_f64 v[12:13], -v[10:11], v[24:25], 1.0
	v_fmac_f64_e32 v[24:25], v[24:25], v[12:13]
	v_div_scale_f64 v[12:13], vcc, v[28:29], v[30:31], v[28:29]
	v_mul_f64 v[20:21], v[12:13], v[24:25]
	v_fma_f64 v[10:11], -v[10:11], v[20:21], v[12:13]
	v_mov_b32_e32 v12, 0x4189822c
	s_nop 0
	v_div_fmas_f64 v[10:11], v[10:11], v[24:25], v[20:21]
	v_div_fixup_f64 v[10:11], v[10:11], v[30:31], v[28:29]
	v_mov_b32_e32 v13, 0xc02d5d2b
	v_mul_f64 v[10:11], v[8:9], v[10:11]
	v_fmac_f64_e32 v[12:13], v[8:9], v[8:9]
	v_mul_f64 v[10:11], v[12:13], v[10:11]
	v_mov_b32_e32 v12, 0x6072a432
	v_mov_b32_e32 v13, 0xc0489bf6
	v_fmac_f64_e32 v[12:13], v[8:9], v[8:9]
	v_mul_f64 v[10:11], v[12:13], v[10:11]
	v_frexp_mant_f64_e32 v[12:13], v[8:9]
	s_mov_b32 s11, 0x3fe55555
	v_cmp_gt_f64_e32 vcc, s[10:11], v[12:13]
	s_mov_b32 s10, 0xbf559e2b
	s_mov_b32 s11, 0x3fc3ab76
	v_cndmask_b32_e64 v20, 0, 1, vcc
	v_ldexp_f64 v[12:13], v[12:13], v20
	v_add_f64 v[20:21], v[12:13], 1.0
	v_rcp_f64_e32 v[22:23], v[20:21]
	v_add_f64 v[26:27], v[20:21], -1.0
	v_add_f64 v[24:25], v[12:13], -1.0
	v_add_f64 v[12:13], v[12:13], -v[26:27]
	v_fma_f64 v[26:27], -v[20:21], v[22:23], 1.0
	v_fmac_f64_e32 v[22:23], v[26:27], v[22:23]
	v_fma_f64 v[26:27], -v[20:21], v[22:23], 1.0
	v_fmac_f64_e32 v[22:23], v[26:27], v[22:23]
	v_mul_f64 v[26:27], v[24:25], v[22:23]
	v_mul_f64 v[28:29], v[20:21], v[26:27]
	v_fma_f64 v[20:21], v[26:27], v[20:21], -v[28:29]
	v_fmac_f64_e32 v[20:21], v[26:27], v[12:13]
	v_add_f64 v[12:13], v[28:29], v[20:21]
	v_add_f64 v[30:31], v[24:25], -v[12:13]
	v_add_f64 v[28:29], v[12:13], -v[28:29]
	;; [unrolled: 1-line block ×5, first 2 shown]
	v_add_f64 v[12:13], v[20:21], v[12:13]
	v_add_f64 v[12:13], v[30:31], v[12:13]
	v_mul_f64 v[12:13], v[22:23], v[12:13]
	v_add_f64 v[20:21], v[26:27], v[12:13]
	v_add_f64 v[22:23], v[20:21], -v[26:27]
	v_add_f64 v[12:13], v[12:13], -v[22:23]
	v_mul_f64 v[22:23], v[20:21], v[20:21]
	v_mov_b32_e32 v24, 0x6b47b09a
	v_mov_b32_e32 v25, 0x3fc38538
	v_fmac_f64_e32 v[24:25], s[10:11], v[22:23]
	v_mov_b32_e32 v26, 0xd7f4df2e
	v_mov_b32_e32 v27, 0x3fc7474d
	v_fmac_f64_e32 v[26:27], v[22:23], v[24:25]
	;; [unrolled: 3-line block ×6, first 2 shown]
	v_ldexp_f64 v[24:25], v[20:21], 1
	v_mul_f64 v[20:21], v[20:21], v[22:23]
	v_mul_f64 v[20:21], v[20:21], v[26:27]
	v_add_f64 v[22:23], v[24:25], v[20:21]
	v_add_f64 v[24:25], v[22:23], -v[24:25]
	v_ldexp_f64 v[12:13], v[12:13], 1
	v_add_f64 v[20:21], v[20:21], -v[24:25]
	v_add_f64 v[12:13], v[12:13], v[20:21]
	v_frexp_exp_i32_f64_e32 v7, v[8:9]
	v_add_f64 v[20:21], v[22:23], v[12:13]
	v_subbrev_co_u32_e32 v7, vcc, 0, v7, vcc
	v_add_f64 v[22:23], v[20:21], -v[22:23]
	s_mov_b32 s10, 0xfefa39ef
	v_add_f64 v[12:13], v[12:13], -v[22:23]
	v_cvt_f64_i32_e32 v[22:23], v7
	s_mov_b32 s11, 0x3fe62e42
	v_mul_f64 v[24:25], v[22:23], s[10:11]
	v_fma_f64 v[26:27], v[22:23], s[10:11], -v[24:25]
	s_mov_b32 s10, 0x3b39803f
	s_mov_b32 s11, 0x3c7abc9e
	v_fmac_f64_e32 v[26:27], s[10:11], v[22:23]
	v_add_f64 v[22:23], v[24:25], v[26:27]
	v_add_f64 v[24:25], v[22:23], -v[24:25]
	v_add_f64 v[24:25], v[26:27], -v[24:25]
	v_add_f64 v[26:27], v[22:23], v[20:21]
	v_add_f64 v[28:29], v[26:27], -v[22:23]
	v_add_f64 v[30:31], v[26:27], -v[28:29]
	;; [unrolled: 1-line block ×4, first 2 shown]
	v_add_f64 v[20:21], v[20:21], v[22:23]
	v_add_f64 v[22:23], v[24:25], v[12:13]
	v_add_f64 v[28:29], v[22:23], -v[24:25]
	v_add_f64 v[30:31], v[22:23], -v[28:29]
	v_add_f64 v[20:21], v[22:23], v[20:21]
	v_add_f64 v[24:25], v[24:25], -v[30:31]
	v_add_f64 v[12:13], v[12:13], -v[28:29]
	v_add_f64 v[22:23], v[26:27], v[20:21]
	v_add_f64 v[12:13], v[12:13], v[24:25]
	v_add_f64 v[24:25], v[22:23], -v[26:27]
	v_div_scale_f64 v[26:27], s[10:11], v[8:9], v[8:9], -1.0
	v_rcp_f64_e32 v[28:29], v[26:27]
	v_add_f64 v[20:21], v[20:21], -v[24:25]
	v_add_f64 v[12:13], v[12:13], v[20:21]
	v_add_f64 v[12:13], v[22:23], v[12:13]
	v_fma_f64 v[20:21], -v[26:27], v[28:29], 1.0
	v_fmac_f64_e32 v[28:29], v[28:29], v[20:21]
	v_fma_f64 v[20:21], -v[26:27], v[28:29], 1.0
	v_fmac_f64_e32 v[28:29], v[28:29], v[20:21]
	v_div_scale_f64 v[20:21], vcc, -1.0, v[8:9], -1.0
	v_mul_f64 v[22:23], v[20:21], v[28:29]
	v_fma_f64 v[20:21], -v[26:27], v[22:23], v[20:21]
	s_mov_b32 s10, 0x6dc9c883
	s_nop 0
	v_div_fmas_f64 v[20:21], v[20:21], v[28:29], v[22:23]
	v_div_fixup_f64 v[20:21], v[20:21], v[8:9], -1.0
	v_fmac_f64_e32 v[20:21], v[10:11], v[12:13]
	s_mov_b32 s11, 0x3fe45f30
	v_mul_f64 v[12:13], v[20:21], s[10:11]
	v_fmac_f64_e32 v[12:13], v[8:9], v[18:19]
.LBB0_67:
	s_or_b64 exec, exec, s[8:9]
.LBB0_68:
	s_or_b64 exec, exec, s[6:7]
                                        ; implicit-def: $vgpr8_vgpr9
.LBB0_69:
	s_andn2_saveexec_b64 s[6:7], s[2:3]
	s_cbranch_execz .LBB0_84
; %bb.70:
	s_mov_b32 s2, 0x7f3321d2
	s_mov_b32 s3, 0xc002d97c
	v_add_f64 v[10:11], v[8:9], s[2:3]
	s_mov_b32 s2, 0
	s_mov_b32 s3, 0x41d00000
	v_cmp_nlt_f64_e64 s[8:9], |v[10:11]|, s[2:3]
	v_trig_preop_f64 v[28:29], |v[10:11]|, 0
	v_trig_preop_f64 v[26:27], |v[10:11]|, 1
	;; [unrolled: 1-line block ×3, first 2 shown]
                                        ; implicit-def: $vgpr7
                                        ; implicit-def: $vgpr12_vgpr13
                                        ; implicit-def: $vgpr18_vgpr19
	s_and_saveexec_b64 s[2:3], s[8:9]
	s_xor_b64 s[10:11], exec, s[2:3]
	s_cbranch_execz .LBB0_77
; %bb.71:
	s_mov_b32 s2, 0
	s_mov_b32 s3, 0x7b000000
	s_movk_i32 s12, 0xff80
	v_and_b32_e32 v7, 0x7fffffff, v11
	v_ldexp_f64 v[12:13], |v[10:11]|, s12
	v_cmp_ge_f64_e64 vcc, |v[10:11]|, s[2:3]
	s_mov_b32 s2, 0
	s_mov_b32 s3, 0x7ff00000
	v_cndmask_b32_e32 v13, v7, v13, vcc
	v_cndmask_b32_e32 v12, v10, v12, vcc
	v_mul_f64 v[20:21], v[28:29], v[12:13]
	v_mul_f64 v[18:19], v[26:27], v[12:13]
	v_fma_f64 v[22:23], v[28:29], v[12:13], -v[20:21]
	v_add_f64 v[30:31], v[18:19], v[22:23]
	v_add_f64 v[48:49], v[30:31], -v[18:19]
	v_add_f64 v[22:23], v[22:23], -v[48:49]
	;; [unrolled: 1-line block ×4, first 2 shown]
	v_add_f64 v[22:23], v[22:23], v[48:49]
	v_fma_f64 v[18:19], v[26:27], v[12:13], -v[18:19]
	v_mul_f64 v[48:49], v[24:25], v[12:13]
	v_add_f64 v[50:51], v[48:49], v[18:19]
	v_add_f64 v[32:33], v[20:21], v[30:31]
	;; [unrolled: 1-line block ×3, first 2 shown]
	v_ldexp_f64 v[36:37], v[32:33], -2
	v_add_f64 v[20:21], v[32:33], -v[20:21]
	v_add_f64 v[32:33], v[52:53], -v[50:51]
	;; [unrolled: 1-line block ×5, first 2 shown]
	v_add_f64 v[22:23], v[22:23], v[32:33]
	v_add_f64 v[32:33], v[50:51], -v[48:49]
	v_add_f64 v[18:19], v[18:19], -v[32:33]
	;; [unrolled: 1-line block ×5, first 2 shown]
	v_add_f64 v[18:19], v[18:19], v[32:33]
	v_fract_f64_e32 v[38:39], v[36:37]
	v_add_f64 v[30:31], v[20:21], v[52:53]
	v_add_f64 v[18:19], v[18:19], v[22:23]
	v_fma_f64 v[12:13], v[24:25], v[12:13], -v[48:49]
	v_add_f64 v[20:21], v[30:31], -v[20:21]
	v_add_f64 v[12:13], v[12:13], v[18:19]
	v_ldexp_f64 v[18:19], v[38:39], 2
	v_cmp_neq_f64_e64 vcc, |v[36:37]|, s[2:3]
	v_add_f64 v[20:21], v[52:53], -v[20:21]
	v_add_f64 v[12:13], v[20:21], v[12:13]
	v_cndmask_b32_e32 v19, 0, v19, vcc
	v_cndmask_b32_e32 v18, 0, v18, vcc
	v_add_f64 v[20:21], v[30:31], v[18:19]
	v_mov_b32_e32 v7, 0x40100000
	v_cmp_gt_f64_e32 vcc, 0, v[20:21]
	v_mov_b32_e32 v20, 0
	s_mov_b32 s12, 0x33145c07
	v_cndmask_b32_e32 v21, 0, v7, vcc
	v_add_f64 v[18:19], v[18:19], v[20:21]
	v_add_f64 v[22:23], v[30:31], v[18:19]
	v_cvt_i32_f64_e32 v7, v[22:23]
	v_cvt_f64_i32_e32 v[22:23], v7
	v_add_f64 v[18:19], v[18:19], -v[22:23]
	v_add_f64 v[22:23], v[30:31], v[18:19]
	v_add_f64 v[18:19], v[22:23], -v[18:19]
	v_add_f64 v[18:19], v[30:31], -v[18:19]
	v_add_f64 v[12:13], v[12:13], v[18:19]
	v_cmp_le_f64_e32 vcc, 0.5, v[22:23]
	v_mov_b32_e32 v18, 0x3ff00000
	s_mov_b32 s13, 0x3c91a626
	v_cndmask_b32_e32 v21, 0, v18, vcc
	v_addc_co_u32_e64 v7, s[2:3], 0, v7, vcc
	v_add_f64 v[18:19], v[22:23], -v[20:21]
	v_add_f64 v[20:21], v[18:19], v[12:13]
	s_mov_b32 s2, 0x54442d18
	v_add_f64 v[18:19], v[20:21], -v[18:19]
	s_mov_b32 s3, 0x3ff921fb
	v_add_f64 v[12:13], v[12:13], -v[18:19]
	v_mul_f64 v[18:19], v[20:21], s[2:3]
	v_fma_f64 v[22:23], v[20:21], s[2:3], -v[18:19]
	v_fmac_f64_e32 v[22:23], s[12:13], v[20:21]
	v_fmac_f64_e32 v[22:23], s[2:3], v[12:13]
	v_add_f64 v[12:13], v[18:19], v[22:23]
	v_add_f64 v[18:19], v[12:13], -v[18:19]
	v_add_f64 v[18:19], v[22:23], -v[18:19]
	s_andn2_saveexec_b64 s[2:3], s[10:11]
	s_cbranch_execz .LBB0_79
	s_branch .LBB0_78
.LBB0_72:
	s_or_b64 exec, exec, s[4:5]
	s_and_saveexec_b64 s[2:3], s[0:1]
	s_xor_b64 s[0:1], exec, s[2:3]
	s_cbranch_execz .LBB0_85
.LBB0_73:
	v_mov_b32_e32 v7, 0
	v_lshl_add_u64 v[6:7], v[6:7], 3, v[0:1]
	v_mov_b32_e32 v5, v34
	flat_store_dwordx2 v[6:7], v[2:3]
	s_or_b64 exec, exec, s[0:1]
	v_cmp_lt_i32_e32 vcc, v5, v4
	s_and_saveexec_b64 s[0:1], vcc
	s_cbranch_execnz .LBB0_86
.LBB0_74:
	s_or_b64 exec, exec, s[0:1]
	v_cmp_lt_i32_e32 vcc, v5, v4
	s_and_saveexec_b64 s[0:1], vcc
	s_cbranch_execz .LBB0_87
.LBB0_75:
	v_add_u32_e32 v2, s16, v5
	v_mov_b32_e32 v3, 0
	v_lshl_add_u64 v[2:3], v[2:3], 3, v[0:1]
	v_add_u32_e32 v5, 0x100, v5
	flat_store_dwordx2 v[2:3], v[14:15]
	s_or_b64 exec, exec, s[0:1]
	v_cmp_lt_i32_e32 vcc, v5, v4
	s_and_saveexec_b64 s[0:1], vcc
	s_cbranch_execnz .LBB0_88
.LBB0_76:
	s_or_b64 exec, exec, s[0:1]
	s_waitcnt vmcnt(0) lgkmcnt(0)
	s_setpc_b64 s[30:31]
.LBB0_77:
	s_andn2_saveexec_b64 s[2:3], s[10:11]
	s_cbranch_execz .LBB0_79
.LBB0_78:
	s_mov_b32 s10, 0x6dc9c883
	s_mov_b32 s11, 0x3fe45f30
	v_mul_f64 v[12:13], |v[10:11]|, s[10:11]
	s_mov_b32 s10, 0x54442d18
	v_rndne_f64_e32 v[20:21], v[12:13]
	s_mov_b32 s11, 0xbff921fb
	v_fma_f64 v[12:13], v[20:21], s[10:11], |v[10:11]|
	s_mov_b32 s11, 0xbc91a626
	s_mov_b32 s10, 0x33145c00
	v_mul_f64 v[22:23], v[20:21], s[10:11]
	v_add_f64 v[32:33], v[12:13], v[22:23]
	v_fma_f64 v[18:19], s[10:11], v[20:21], v[12:13]
	s_mov_b32 s11, 0x3c91a626
	v_add_f64 v[12:13], v[12:13], -v[32:33]
	v_fma_f64 v[30:31], s[10:11], v[20:21], v[22:23]
	v_add_f64 v[12:13], v[12:13], v[22:23]
	v_add_f64 v[22:23], v[32:33], -v[18:19]
	v_add_f64 v[12:13], v[22:23], v[12:13]
	s_mov_b32 s10, 0x252049c0
	v_add_f64 v[22:23], v[12:13], -v[30:31]
	s_mov_b32 s11, 0xb97b839a
	v_fmac_f64_e32 v[22:23], s[10:11], v[20:21]
	v_add_f64 v[12:13], v[18:19], v[22:23]
	v_add_f64 v[18:19], v[12:13], -v[18:19]
	v_add_f64 v[18:19], v[22:23], -v[18:19]
	v_cvt_i32_f64_e32 v7, v[20:21]
.LBB0_79:
	s_or_b64 exec, exec, s[2:3]
                                        ; implicit-def: $vgpr30
                                        ; implicit-def: $vgpr20_vgpr21
                                        ; implicit-def: $vgpr22_vgpr23
	s_and_saveexec_b64 s[2:3], s[8:9]
	s_xor_b64 s[8:9], exec, s[2:3]
	s_cbranch_execz .LBB0_81
; %bb.80:
	s_mov_b32 s2, 0
	s_mov_b32 s3, 0x7b000000
	s_movk_i32 s10, 0xff80
	v_and_b32_e32 v22, 0x7fffffff, v11
	v_ldexp_f64 v[20:21], |v[10:11]|, s10
	v_cmp_ge_f64_e64 vcc, |v[10:11]|, s[2:3]
	s_mov_b32 s2, 0
	s_mov_b32 s3, 0x7ff00000
	v_cndmask_b32_e32 v21, v22, v21, vcc
	v_cndmask_b32_e32 v20, v10, v20, vcc
	v_mul_f64 v[30:31], v[28:29], v[20:21]
	v_mul_f64 v[22:23], v[26:27], v[20:21]
	v_fma_f64 v[28:29], v[28:29], v[20:21], -v[30:31]
	v_add_f64 v[32:33], v[22:23], v[28:29]
	v_add_f64 v[50:51], v[32:33], -v[22:23]
	v_add_f64 v[28:29], v[28:29], -v[50:51]
	;; [unrolled: 1-line block ×4, first 2 shown]
	v_fma_f64 v[22:23], v[26:27], v[20:21], -v[22:23]
	v_mul_f64 v[26:27], v[24:25], v[20:21]
	v_add_f64 v[28:29], v[28:29], v[50:51]
	v_add_f64 v[50:51], v[26:27], v[22:23]
	;; [unrolled: 1-line block ×4, first 2 shown]
	v_ldexp_f64 v[38:39], v[36:37], -2
	v_add_f64 v[30:31], v[36:37], -v[30:31]
	v_add_f64 v[36:37], v[52:53], -v[50:51]
	;; [unrolled: 1-line block ×5, first 2 shown]
	v_add_f64 v[28:29], v[28:29], v[36:37]
	v_add_f64 v[36:37], v[50:51], -v[26:27]
	v_add_f64 v[22:23], v[22:23], -v[36:37]
	v_add_f64 v[36:37], v[50:51], -v[36:37]
	v_add_f64 v[36:37], v[26:27], -v[36:37]
	v_add_f64 v[22:23], v[22:23], v[36:37]
	v_fract_f64_e32 v[48:49], v[38:39]
	v_add_f64 v[22:23], v[22:23], v[28:29]
	v_fma_f64 v[20:21], v[24:25], v[20:21], -v[26:27]
	v_add_f64 v[30:31], v[32:33], -v[30:31]
	v_add_f64 v[20:21], v[20:21], v[22:23]
	v_ldexp_f64 v[22:23], v[48:49], 2
	v_cmp_neq_f64_e64 vcc, |v[38:39]|, s[2:3]
	v_add_f64 v[32:33], v[30:31], v[52:53]
	v_mov_b32_e32 v26, 0x40100000
	v_cndmask_b32_e32 v23, 0, v23, vcc
	v_cndmask_b32_e32 v22, 0, v22, vcc
	v_add_f64 v[24:25], v[32:33], v[22:23]
	v_cmp_gt_f64_e32 vcc, 0, v[24:25]
	v_mov_b32_e32 v24, 0
	v_add_f64 v[30:31], v[32:33], -v[30:31]
	v_cndmask_b32_e32 v25, 0, v26, vcc
	v_add_f64 v[22:23], v[22:23], v[24:25]
	v_add_f64 v[26:27], v[32:33], v[22:23]
	v_cvt_i32_f64_e32 v25, v[26:27]
	v_cvt_f64_i32_e32 v[26:27], v25
	v_add_f64 v[22:23], v[22:23], -v[26:27]
	v_add_f64 v[26:27], v[32:33], v[22:23]
	v_add_f64 v[30:31], v[52:53], -v[30:31]
	v_add_f64 v[22:23], v[26:27], -v[22:23]
	v_add_f64 v[20:21], v[30:31], v[20:21]
	v_add_f64 v[22:23], v[32:33], -v[22:23]
	v_add_f64 v[20:21], v[20:21], v[22:23]
	v_cmp_le_f64_e32 vcc, 0.5, v[26:27]
	v_mov_b32_e32 v22, 0x3ff00000
	s_mov_b32 s10, 0x33145c07
	v_addc_co_u32_e64 v30, s[2:3], 0, v25, vcc
	v_cndmask_b32_e32 v25, 0, v22, vcc
	v_add_f64 v[22:23], v[26:27], -v[24:25]
	v_add_f64 v[24:25], v[22:23], v[20:21]
	s_mov_b32 s2, 0x54442d18
	v_add_f64 v[22:23], v[24:25], -v[22:23]
	s_mov_b32 s3, 0x3ff921fb
	v_add_f64 v[20:21], v[20:21], -v[22:23]
	v_mul_f64 v[22:23], v[24:25], s[2:3]
	v_fma_f64 v[26:27], v[24:25], s[2:3], -v[22:23]
	s_mov_b32 s11, 0x3c91a626
	v_fmac_f64_e32 v[26:27], s[10:11], v[24:25]
	v_fmac_f64_e32 v[26:27], s[2:3], v[20:21]
	v_add_f64 v[20:21], v[22:23], v[26:27]
	v_add_f64 v[22:23], v[20:21], -v[22:23]
	v_add_f64 v[22:23], v[26:27], -v[22:23]
	s_andn2_saveexec_b64 s[2:3], s[8:9]
	s_cbranch_execnz .LBB0_82
	s_branch .LBB0_83
.LBB0_81:
	s_andn2_saveexec_b64 s[2:3], s[8:9]
	s_cbranch_execz .LBB0_83
.LBB0_82:
	s_mov_b32 s8, 0x6dc9c883
	s_mov_b32 s9, 0x3fe45f30
	v_mul_f64 v[20:21], |v[10:11]|, s[8:9]
	s_mov_b32 s8, 0x54442d18
	v_rndne_f64_e32 v[24:25], v[20:21]
	s_mov_b32 s9, 0xbff921fb
	v_fma_f64 v[20:21], v[24:25], s[8:9], |v[10:11]|
	s_mov_b32 s9, 0xbc91a626
	s_mov_b32 s8, 0x33145c00
	v_mul_f64 v[26:27], v[24:25], s[8:9]
	v_add_f64 v[30:31], v[20:21], v[26:27]
	v_fma_f64 v[22:23], s[8:9], v[24:25], v[20:21]
	s_mov_b32 s9, 0x3c91a626
	v_add_f64 v[20:21], v[20:21], -v[30:31]
	v_fma_f64 v[28:29], s[8:9], v[24:25], v[26:27]
	v_add_f64 v[20:21], v[20:21], v[26:27]
	v_add_f64 v[26:27], v[30:31], -v[22:23]
	v_add_f64 v[20:21], v[26:27], v[20:21]
	s_mov_b32 s8, 0x252049c0
	v_add_f64 v[26:27], v[20:21], -v[28:29]
	s_mov_b32 s9, 0xb97b839a
	v_fmac_f64_e32 v[26:27], s[8:9], v[24:25]
	v_add_f64 v[20:21], v[22:23], v[26:27]
	v_add_f64 v[22:23], v[20:21], -v[22:23]
	v_add_f64 v[22:23], v[26:27], -v[22:23]
	v_cvt_i32_f64_e32 v30, v[24:25]
.LBB0_83:
	s_or_b64 exec, exec, s[2:3]
	s_mov_b32 s2, 0
	s_mov_b32 s3, 0x40140000
	v_div_scale_f64 v[24:25], s[8:9], v[8:9], v[8:9], s[2:3]
	v_rcp_f64_e32 v[26:27], v[24:25]
	v_mov_b32_e32 v36, 0x5948aa83
	v_mov_b32_e32 v37, 0x3fb19fdd
	;; [unrolled: 1-line block ×3, first 2 shown]
	v_fma_f64 v[28:29], -v[24:25], v[26:27], 1.0
	v_fmac_f64_e32 v[26:27], v[26:27], v[28:29]
	v_fma_f64 v[28:29], -v[24:25], v[26:27], 1.0
	v_fmac_f64_e32 v[26:27], v[26:27], v[28:29]
	v_div_scale_f64 v[28:29], vcc, s[2:3], v[8:9], s[2:3]
	v_mul_f64 v[32:33], v[28:29], v[26:27]
	v_fma_f64 v[24:25], -v[24:25], v[32:33], v[28:29]
	v_mov_b32_e32 v28, 0x4c6c651b
	s_nop 0
	v_div_fmas_f64 v[24:25], v[24:25], v[26:27], v[32:33]
	v_div_fixup_f64 v[24:25], v[24:25], v[8:9], s[2:3]
	v_mul_f64 v[26:27], v[24:25], v[24:25]
	v_mov_b32_e32 v29, 0x3f48f92c
	v_fmac_f64_e32 v[28:29], 0, v[26:27]
	v_mov_b32_e32 v32, 0xa3fec4b6
	v_mov_b32_e32 v33, 0x3fb2b948
	v_fmac_f64_e32 v[32:33], v[26:27], v[28:29]
	v_mov_b32_e32 v28, 0xc21596d6
	;; [unrolled: 3-line block ×6, first 2 shown]
	v_mov_b32_e32 v29, 0x3f42b89b
	v_fmac_f64_e32 v[28:29], 0, v[26:27]
	v_fmac_f64_e32 v[36:37], v[26:27], v[28:29]
	v_mov_b32_e32 v28, 0xb850eed6
	v_mov_b32_e32 v29, 0x3ff1aea9
	v_fmac_f64_e32 v[28:29], v[26:27], v[36:37]
	v_mov_b32_e32 v36, 0xf7d251a1
	v_mov_b32_e32 v37, 0x40144ba2
	;; [unrolled: 3-line block ×4, first 2 shown]
	v_fmac_f64_e32 v[36:37], v[26:27], v[28:29]
	v_fma_f64 v[28:29], v[26:27], v[36:37], 1.0
	v_mov_b32_e32 v36, 0x6b70ba40
	v_mov_b32_e32 v37, 0x3faa27fa
	v_fmac_f64_e32 v[36:37], 0, v[26:27]
	v_mov_b32_e32 v39, 0x4013edb5
	v_fmac_f64_e32 v[38:39], v[26:27], v[36:37]
	v_mov_b32_e32 v36, 0x9acf1c67
	v_mov_b32_e32 v37, 0x4052f4b9
	v_fmac_f64_e32 v[36:37], v[26:27], v[38:39]
	v_mov_b32_e32 v38, 0x47aa180d
	;; [unrolled: 3-line block ×12, first 2 shown]
	v_mov_b32_e32 v49, 0x40a61462
	v_fma_f64 v[32:33], v[26:27], v[32:33], 1.0
	v_fmac_f64_e32 v[48:49], v[26:27], v[36:37]
	v_div_scale_f64 v[36:37], s[2:3], v[28:29], v[28:29], v[32:33]
	v_rcp_f64_e32 v[50:51], v[36:37]
	v_mov_b32_e32 v52, 0x6ae75997
	v_mov_b32_e32 v53, 0x4075017f
	v_fmac_f64_e32 v[52:53], v[26:27], v[48:49]
	v_fma_f64 v[26:27], -v[36:37], v[50:51], 1.0
	v_fmac_f64_e32 v[50:51], v[50:51], v[26:27]
	v_fma_f64 v[26:27], -v[36:37], v[50:51], 1.0
	v_fmac_f64_e32 v[50:51], v[50:51], v[26:27]
	v_div_scale_f64 v[26:27], vcc, v[32:33], v[28:29], v[32:33]
	v_mul_f64 v[48:49], v[26:27], v[50:51]
	v_fma_f64 v[26:27], -v[36:37], v[48:49], v[26:27]
	s_mov_b32 s2, 0x9037ab78
	s_nop 0
	v_div_fmas_f64 v[26:27], v[26:27], v[50:51], v[48:49]
	s_mov_b32 s3, 0x3e21eeb6
	s_mov_b32 s8, 0x46cc5e42
	v_div_fixup_f64 v[26:27], v[26:27], v[28:29], v[32:33]
	v_mul_f64 v[28:29], v[12:13], v[12:13]
	s_mov_b32 s9, 0xbda907db
	v_mov_b64_e32 v[50:51], s[2:3]
	s_mov_b32 s10, 0xa17f65f6
	v_mul_f64 v[32:33], v[28:29], 0.5
	v_fma_f64 v[54:55], s[8:9], v[28:29], v[50:51]
	s_mov_b32 s11, 0xbe927e4f
	s_mov_b32 s12, 0x19f4ec90
	v_add_f64 v[36:37], -v[32:33], 1.0
	v_fma_f64 v[54:55], v[28:29], v[54:55], s[10:11]
	s_mov_b32 s13, 0x3efa01a0
	s_mov_b32 s14, 0x16c16967
	v_add_f64 v[48:49], -v[36:37], 1.0
	v_fma_f64 v[54:55], v[28:29], v[54:55], s[12:13]
	s_mov_b32 s15, 0xbf56c16c
	s_mov_b32 s18, 0x55555555
	v_add_f64 v[32:33], v[48:49], -v[32:33]
	v_fma_f64 v[54:55], v[28:29], v[54:55], s[14:15]
	s_mov_b32 s19, 0x3fa55555
	v_mul_f64 v[48:49], v[28:29], v[28:29]
	v_fma_f64 v[54:55], v[28:29], v[54:55], s[18:19]
	v_fma_f64 v[32:33], v[12:13], -v[18:19], v[32:33]
	s_mov_b32 s2, 0xb42fdfa7
	v_fmac_f64_e32 v[32:33], v[48:49], v[54:55]
	s_mov_b32 s3, 0xbe5ae600
	s_mov_b32 s20, 0xf9a43bb8
	v_add_f64 v[32:33], v[36:37], v[32:33]
	s_mov_b32 s21, 0x3de5e0b2
	v_mov_b64_e32 v[36:37], s[2:3]
	s_mov_b32 s22, 0x796cde01
	v_fma_f64 v[48:49], s[20:21], v[28:29], v[36:37]
	s_mov_b32 s23, 0x3ec71de3
	s_mov_b32 s24, 0x19e83e5c
	v_fma_f64 v[48:49], v[28:29], v[48:49], s[22:23]
	s_mov_b32 s25, 0xbf2a01a0
	;; [unrolled: 3-line block ×3, first 2 shown]
	v_fma_f64 v[48:49], v[28:29], v[48:49], s[26:27]
	v_mul_f64 v[54:55], v[12:13], -v[28:29]
	v_mul_f64 v[64:65], v[18:19], 0.5
	v_fmac_f64_e32 v[64:65], v[54:55], v[48:49]
	v_fma_f64 v[18:19], v[28:29], v[64:65], -v[18:19]
	s_mov_b32 s29, 0xbfc55555
	s_mov_b32 s28, s18
	v_fmac_f64_e32 v[18:19], s[28:29], v[54:55]
	v_add_f64 v[12:13], v[12:13], -v[18:19]
	v_and_b32_e32 v18, 1, v7
	v_cmp_eq_u32_e32 vcc, 0, v18
	v_lshlrev_b32_e32 v7, 30, v7
	v_xor_b32_e32 v7, v7, v11
	v_cndmask_b32_e32 v28, v32, v12, vcc
	v_cndmask_b32_e32 v12, v33, v13, vcc
	s_brev_b32 s17, 1
	v_bitop3_b32 v7, v12, v7, s17 bitop3:0x78
	v_div_scale_f64 v[12:13], s[2:3], v[52:53], v[52:53], v[38:39]
	v_rcp_f64_e32 v[18:19], v[12:13]
	s_movk_i32 s40, 0x1f8
	v_cmp_class_f64_e64 s[2:3], v[10:11], s40
	v_mov_b32_e32 v31, 0x7ff80000
	s_nop 0
	v_cndmask_b32_e64 v10, 0, v28, s[2:3]
	v_fma_f64 v[28:29], -v[12:13], v[18:19], 1.0
	v_fmac_f64_e32 v[18:19], v[18:19], v[28:29]
	v_fma_f64 v[28:29], -v[12:13], v[18:19], 1.0
	v_fmac_f64_e32 v[18:19], v[18:19], v[28:29]
	v_div_scale_f64 v[28:29], vcc, v[38:39], v[52:53], v[38:39]
	v_mul_f64 v[32:33], v[28:29], v[18:19]
	v_fma_f64 v[12:13], -v[12:13], v[32:33], v[28:29]
	v_cndmask_b32_e64 v11, v31, v7, s[2:3]
	s_nop 0
	v_div_fmas_f64 v[12:13], v[12:13], v[18:19], v[32:33]
	v_div_fixup_f64 v[12:13], v[12:13], v[52:53], v[38:39]
	v_mul_f64 v[18:19], v[20:21], v[20:21]
	v_mul_f64 v[12:13], v[24:25], v[12:13]
	v_mul_f64 v[24:25], v[18:19], 0.5
	v_fmac_f64_e32 v[50:51], s[8:9], v[18:19]
	v_add_f64 v[28:29], -v[24:25], 1.0
	v_fma_f64 v[38:39], v[18:19], v[50:51], s[10:11]
	v_add_f64 v[32:33], -v[28:29], 1.0
	v_fma_f64 v[38:39], v[18:19], v[38:39], s[12:13]
	v_add_f64 v[24:25], v[32:33], -v[24:25]
	v_fma_f64 v[38:39], v[18:19], v[38:39], s[14:15]
	v_mul_f64 v[32:33], v[18:19], v[18:19]
	v_fma_f64 v[38:39], v[18:19], v[38:39], s[18:19]
	v_fma_f64 v[24:25], v[20:21], -v[22:23], v[24:25]
	v_fmac_f64_e32 v[24:25], v[32:33], v[38:39]
	v_fmac_f64_e32 v[36:37], s[20:21], v[18:19]
	v_add_f64 v[24:25], v[28:29], v[24:25]
	v_fma_f64 v[28:29], v[18:19], v[36:37], s[22:23]
	v_fma_f64 v[28:29], v[18:19], v[28:29], s[24:25]
	;; [unrolled: 1-line block ×3, first 2 shown]
	v_mul_f64 v[32:33], v[20:21], -v[18:19]
	v_mul_f64 v[36:37], v[22:23], 0.5
	v_fmac_f64_e32 v[36:37], v[32:33], v[28:29]
	v_fma_f64 v[18:19], v[18:19], v[36:37], -v[22:23]
	v_fmac_f64_e32 v[18:19], s[28:29], v[32:33]
	v_add_f64 v[18:19], v[20:21], -v[18:19]
	v_xor_b32_e32 v7, 0x80000000, v19
	v_and_b32_e32 v19, 1, v30
	v_cmp_eq_u32_e32 vcc, 0, v19
	v_lshlrev_b32_e32 v19, 30, v30
	s_nop 0
	v_cndmask_b32_e32 v7, v7, v25, vcc
	v_cndmask_b32_e32 v18, v18, v24, vcc
	v_bitop3_b32 v7, v7, v19, s17 bitop3:0x78
	v_cndmask_b32_e64 v18, 0, v18, s[2:3]
	v_cndmask_b32_e64 v19, v31, v7, s[2:3]
	s_mov_b32 s2, 0
	s_brev_b32 s3, 8
	v_mov_b32_e32 v7, 0x100
	v_cmp_gt_f64_e32 vcc, s[2:3], v[8:9]
	v_mul_f64 v[12:13], v[12:13], v[18:19]
	v_fmac_f64_e32 v[12:13], v[26:27], v[10:11]
	v_cndmask_b32_e32 v7, 0, v7, vcc
	v_ldexp_f64 v[8:9], v[8:9], v7
	v_rsq_f64_e32 v[10:11], v[8:9]
	v_mov_b32_e32 v7, 0xffffff80
	v_cndmask_b32_e32 v7, 0, v7, vcc
	s_mov_b32 s2, 0x33d43651
	v_mul_f64 v[18:19], v[8:9], v[10:11]
	v_mul_f64 v[10:11], v[10:11], 0.5
	v_fma_f64 v[20:21], -v[10:11], v[18:19], 0.5
	v_fmac_f64_e32 v[18:19], v[18:19], v[20:21]
	v_fma_f64 v[22:23], -v[18:19], v[18:19], v[8:9]
	v_fmac_f64_e32 v[10:11], v[10:11], v[20:21]
	v_fmac_f64_e32 v[18:19], v[22:23], v[10:11]
	v_fma_f64 v[20:21], -v[18:19], v[18:19], v[8:9]
	v_fmac_f64_e32 v[18:19], v[20:21], v[10:11]
	v_ldexp_f64 v[10:11], v[18:19], v7
	v_mov_b32_e32 v7, 0x260
	s_mov_b32 s3, 0x3fe98845
	v_cmp_class_f64_e32 vcc, v[8:9], v7
	v_mul_f64 v[12:13], v[12:13], s[2:3]
	s_nop 0
	v_cndmask_b32_e32 v9, v11, v9, vcc
	v_cndmask_b32_e32 v8, v10, v8, vcc
	v_div_scale_f64 v[10:11], s[2:3], v[8:9], v[8:9], v[12:13]
	v_rcp_f64_e32 v[18:19], v[10:11]
	s_nop 0
	v_fma_f64 v[20:21], -v[10:11], v[18:19], 1.0
	v_fmac_f64_e32 v[18:19], v[18:19], v[20:21]
	v_fma_f64 v[20:21], -v[10:11], v[18:19], 1.0
	v_fmac_f64_e32 v[18:19], v[18:19], v[20:21]
	v_div_scale_f64 v[20:21], vcc, v[12:13], v[8:9], v[12:13]
	v_mul_f64 v[22:23], v[20:21], v[18:19]
	v_fma_f64 v[10:11], -v[10:11], v[22:23], v[20:21]
	s_nop 1
	v_div_fmas_f64 v[10:11], v[10:11], v[18:19], v[22:23]
	v_div_fixup_f64 v[12:13], v[10:11], v[8:9], v[12:13]
.LBB0_84:
	s_or_b64 exec, exec, s[6:7]
	s_or_b64 exec, exec, s[4:5]
	s_and_saveexec_b64 s[2:3], s[0:1]
	s_xor_b64 s[0:1], exec, s[2:3]
	s_cbranch_execnz .LBB0_73
.LBB0_85:
	s_or_b64 exec, exec, s[0:1]
	v_cmp_lt_i32_e32 vcc, v5, v4
	s_and_saveexec_b64 s[0:1], vcc
	s_cbranch_execz .LBB0_74
.LBB0_86:
	v_add_u32_e32 v2, s16, v5
	v_mov_b32_e32 v3, 0
	v_lshl_add_u64 v[2:3], v[2:3], 3, v[0:1]
	v_add_u32_e32 v5, 0x100, v5
	flat_store_dwordx2 v[2:3], v[16:17]
	s_or_b64 exec, exec, s[0:1]
	v_cmp_lt_i32_e32 vcc, v5, v4
	s_and_saveexec_b64 s[0:1], vcc
	s_cbranch_execnz .LBB0_75
.LBB0_87:
	s_or_b64 exec, exec, s[0:1]
	v_cmp_lt_i32_e32 vcc, v5, v4
	s_and_saveexec_b64 s[0:1], vcc
	s_cbranch_execz .LBB0_76
.LBB0_88:
	v_add_u32_e32 v2, s16, v5
	v_mov_b32_e32 v3, 0
	v_lshl_add_u64 v[0:1], v[2:3], 3, v[0:1]
	flat_store_dwordx2 v[0:1], v[12:13]
	s_or_b64 exec, exec, s[0:1]
	s_waitcnt vmcnt(0) lgkmcnt(0)
	s_setpc_b64 s[30:31]
.Lfunc_end0:
	.size	_ZN2at6native25elementwise_kernel_helperILb0EZZZNS0_12_GLOBAL__N_121bessel_y1_kernel_cudaERNS_18TensorIteratorBaseEENKUlvE_clEvENKUlvE_clEvEUldE_NS0_6memory8policies11unroll_baseILi256ESt5arrayIPcLm2EE23TrivialOffsetCalculatorILi1EjESF_NS8_15LoadWithoutCastENS8_16StoreWithoutCastELi4ELi1EEEEEvT0_T1_, .Lfunc_end0-_ZN2at6native25elementwise_kernel_helperILb0EZZZNS0_12_GLOBAL__N_121bessel_y1_kernel_cudaERNS_18TensorIteratorBaseEENKUlvE_clEvENKUlvE_clEvEUldE_NS0_6memory8policies11unroll_baseILi256ESt5arrayIPcLm2EE23TrivialOffsetCalculatorILi1EjESF_NS8_15LoadWithoutCastENS8_16StoreWithoutCastELi4ELi1EEEEEvT0_T1_
                                        ; -- End function
	.set .L_ZN2at6native25elementwise_kernel_helperILb0EZZZNS0_12_GLOBAL__N_121bessel_y1_kernel_cudaERNS_18TensorIteratorBaseEENKUlvE_clEvENKUlvE_clEvEUldE_NS0_6memory8policies11unroll_baseILi256ESt5arrayIPcLm2EE23TrivialOffsetCalculatorILi1EjESF_NS8_15LoadWithoutCastENS8_16StoreWithoutCastELi4ELi1EEEEEvT0_T1_.num_vgpr, 68
	.set .L_ZN2at6native25elementwise_kernel_helperILb0EZZZNS0_12_GLOBAL__N_121bessel_y1_kernel_cudaERNS_18TensorIteratorBaseEENKUlvE_clEvENKUlvE_clEvEUldE_NS0_6memory8policies11unroll_baseILi256ESt5arrayIPcLm2EE23TrivialOffsetCalculatorILi1EjESF_NS8_15LoadWithoutCastENS8_16StoreWithoutCastELi4ELi1EEEEEvT0_T1_.num_agpr, 0
	.set .L_ZN2at6native25elementwise_kernel_helperILb0EZZZNS0_12_GLOBAL__N_121bessel_y1_kernel_cudaERNS_18TensorIteratorBaseEENKUlvE_clEvENKUlvE_clEvEUldE_NS0_6memory8policies11unroll_baseILi256ESt5arrayIPcLm2EE23TrivialOffsetCalculatorILi1EjESF_NS8_15LoadWithoutCastENS8_16StoreWithoutCastELi4ELi1EEEEEvT0_T1_.numbered_sgpr, 41
	.set .L_ZN2at6native25elementwise_kernel_helperILb0EZZZNS0_12_GLOBAL__N_121bessel_y1_kernel_cudaERNS_18TensorIteratorBaseEENKUlvE_clEvENKUlvE_clEvEUldE_NS0_6memory8policies11unroll_baseILi256ESt5arrayIPcLm2EE23TrivialOffsetCalculatorILi1EjESF_NS8_15LoadWithoutCastENS8_16StoreWithoutCastELi4ELi1EEEEEvT0_T1_.num_named_barrier, 0
	.set .L_ZN2at6native25elementwise_kernel_helperILb0EZZZNS0_12_GLOBAL__N_121bessel_y1_kernel_cudaERNS_18TensorIteratorBaseEENKUlvE_clEvENKUlvE_clEvEUldE_NS0_6memory8policies11unroll_baseILi256ESt5arrayIPcLm2EE23TrivialOffsetCalculatorILi1EjESF_NS8_15LoadWithoutCastENS8_16StoreWithoutCastELi4ELi1EEEEEvT0_T1_.private_seg_size, 0
	.set .L_ZN2at6native25elementwise_kernel_helperILb0EZZZNS0_12_GLOBAL__N_121bessel_y1_kernel_cudaERNS_18TensorIteratorBaseEENKUlvE_clEvENKUlvE_clEvEUldE_NS0_6memory8policies11unroll_baseILi256ESt5arrayIPcLm2EE23TrivialOffsetCalculatorILi1EjESF_NS8_15LoadWithoutCastENS8_16StoreWithoutCastELi4ELi1EEEEEvT0_T1_.uses_vcc, 1
	.set .L_ZN2at6native25elementwise_kernel_helperILb0EZZZNS0_12_GLOBAL__N_121bessel_y1_kernel_cudaERNS_18TensorIteratorBaseEENKUlvE_clEvENKUlvE_clEvEUldE_NS0_6memory8policies11unroll_baseILi256ESt5arrayIPcLm2EE23TrivialOffsetCalculatorILi1EjESF_NS8_15LoadWithoutCastENS8_16StoreWithoutCastELi4ELi1EEEEEvT0_T1_.uses_flat_scratch, 0
	.set .L_ZN2at6native25elementwise_kernel_helperILb0EZZZNS0_12_GLOBAL__N_121bessel_y1_kernel_cudaERNS_18TensorIteratorBaseEENKUlvE_clEvENKUlvE_clEvEUldE_NS0_6memory8policies11unroll_baseILi256ESt5arrayIPcLm2EE23TrivialOffsetCalculatorILi1EjESF_NS8_15LoadWithoutCastENS8_16StoreWithoutCastELi4ELi1EEEEEvT0_T1_.has_dyn_sized_stack, 0
	.set .L_ZN2at6native25elementwise_kernel_helperILb0EZZZNS0_12_GLOBAL__N_121bessel_y1_kernel_cudaERNS_18TensorIteratorBaseEENKUlvE_clEvENKUlvE_clEvEUldE_NS0_6memory8policies11unroll_baseILi256ESt5arrayIPcLm2EE23TrivialOffsetCalculatorILi1EjESF_NS8_15LoadWithoutCastENS8_16StoreWithoutCastELi4ELi1EEEEEvT0_T1_.has_recursion, 0
	.set .L_ZN2at6native25elementwise_kernel_helperILb0EZZZNS0_12_GLOBAL__N_121bessel_y1_kernel_cudaERNS_18TensorIteratorBaseEENKUlvE_clEvENKUlvE_clEvEUldE_NS0_6memory8policies11unroll_baseILi256ESt5arrayIPcLm2EE23TrivialOffsetCalculatorILi1EjESF_NS8_15LoadWithoutCastENS8_16StoreWithoutCastELi4ELi1EEEEEvT0_T1_.has_indirect_call, 0
	.section	.AMDGPU.csdata,"",@progbits
; Function info:
; codeLenInByte = 21088
; TotalNumSgprs: 47
; NumVgprs: 68
; NumAgprs: 0
; TotalNumVgprs: 68
; ScratchSize: 0
; MemoryBound: 0
	.text
	.p2align	2                               ; -- Begin function _ZN2at6native25elementwise_kernel_helperILb0EZZZNS0_12_GLOBAL__N_121bessel_y1_kernel_cudaERNS_18TensorIteratorBaseEENKUlvE_clEvENKUlvE_clEvEUldE_NS0_6memory8policies10vectorizedILi4ESt5arrayIPcLm2EELi4EEEEEvT0_T1_
	.type	_ZN2at6native25elementwise_kernel_helperILb0EZZZNS0_12_GLOBAL__N_121bessel_y1_kernel_cudaERNS_18TensorIteratorBaseEENKUlvE_clEvENKUlvE_clEvEUldE_NS0_6memory8policies10vectorizedILi4ESt5arrayIPcLm2EELi4EEEEEvT0_T1_,@function
_ZN2at6native25elementwise_kernel_helperILb0EZZZNS0_12_GLOBAL__N_121bessel_y1_kernel_cudaERNS_18TensorIteratorBaseEENKUlvE_clEvENKUlvE_clEvEUldE_NS0_6memory8policies10vectorizedILi4ESt5arrayIPcLm2EELi4EEEEEvT0_T1_: ; @_ZN2at6native25elementwise_kernel_helperILb0EZZZNS0_12_GLOBAL__N_121bessel_y1_kernel_cudaERNS_18TensorIteratorBaseEENKUlvE_clEvENKUlvE_clEvEUldE_NS0_6memory8policies10vectorizedILi4ESt5arrayIPcLm2EELi4EEEEEvT0_T1_
; %bb.0:
	s_waitcnt vmcnt(0) expcnt(0) lgkmcnt(0)
	s_lshl_b32 s2, s12, 10
	s_ashr_i32 s3, s2, 31
	v_and_b32_e32 v4, 0x3ff, v31
	v_lshl_add_u64 v[2:3], s[2:3], 3, v[2:3]
	v_mov_b32_e32 v15, 0
	v_lshlrev_b32_e32 v14, 5, v4
	v_lshl_add_u64 v[6:7], v[2:3], 0, v[14:15]
	flat_load_dwordx4 v[8:11], v[6:7]
	flat_load_dwordx4 v[2:5], v[6:7] offset:16
	s_mov_b32 s0, 0
	s_mov_b32 s1, 0x40140000
                                        ; implicit-def: $vgpr6_vgpr7
	s_waitcnt vmcnt(0) lgkmcnt(0)
	v_cmp_ge_f64_e32 vcc, s[0:1], v[8:9]
	s_and_saveexec_b64 s[0:1], vcc
	s_xor_b64 s[0:1], exec, s[0:1]
	s_cbranch_execz .LBB1_6
; %bb.1:
	v_mov_b32_e32 v6, 0
	v_cmp_neq_f64_e32 vcc, 0, v[8:9]
	v_mov_b32_e32 v7, 0xfff00000
	s_and_saveexec_b64 s[4:5], vcc
	s_cbranch_execz .LBB1_5
; %bb.2:
	v_mov_b32_e32 v6, 0
	v_cmp_nge_f64_e32 vcc, 0, v[8:9]
	v_mov_b32_e32 v7, 0x7ff80000
	s_and_saveexec_b64 s[6:7], vcc
	s_cbranch_execz .LBB1_4
; %bb.3:
	v_mul_f64 v[6:7], v[8:9], v[8:9]
	v_mov_b32_e32 v12, 0x62f9b6c5
	v_mov_b32_e32 v13, 0x41d2d2be
	v_fmac_f64_e32 v[12:13], 0, v[6:7]
	v_mov_b32_e32 v16, 0x58836521
	v_mov_b32_e32 v17, 0xc262d72d
	v_fmac_f64_e32 v[16:17], v[6:7], v[12:13]
	v_mov_b32_e32 v12, 0xb0910fef
	v_mov_b32_e32 v13, 0x42da0954
	v_fmac_f64_e32 v[12:13], v[6:7], v[16:17]
	v_mov_b32_e32 v16, 0x37a1b083
	v_mov_b32_e32 v17, 0xc33ce01a
	v_fmac_f64_e32 v[16:17], v[6:7], v[12:13]
	v_mov_b32_e32 v12, 0xb7366b1
	v_mov_b32_e32 v13, 0x438679ad
	v_fmac_f64_e32 v[12:13], v[6:7], v[16:17]
	v_mov_b32_e32 v16, 0xa93f7ac2
	v_mov_b32_e32 v17, 0x40829269
	v_fmac_f64_e32 v[16:17], 0, v[6:7]
	v_mov_b32_e32 v18, 0xbe58ef7f
	v_mov_b32_e32 v19, 0x410cc160
	v_fmac_f64_e32 v[18:19], v[6:7], v[16:17]
	v_mov_b32_e32 v16, 0xa9c8acee
	v_mov_b32_e32 v17, 0x419184ef
	v_fmac_f64_e32 v[16:17], v[6:7], v[18:19]
	v_mov_b32_e32 v18, 0x906b7b83
	v_mov_b32_e32 v19, 0x421178c3
	v_fmac_f64_e32 v[18:19], v[6:7], v[16:17]
	v_mov_b32_e32 v16, 0xfda99316
	v_mov_b32_e32 v17, 0x428c3f5e
	v_fmac_f64_e32 v[16:17], v[6:7], v[18:19]
	v_mov_b32_e32 v18, 0xd71d1e4e
	v_mov_b32_e32 v19, 0x4301a326
	v_fmac_f64_e32 v[18:19], v[6:7], v[16:17]
	v_mov_b32_e32 v16, 0xc547a488
	v_mov_b32_e32 v17, 0x436e83e3
	v_fmac_f64_e32 v[16:17], v[6:7], v[18:19]
	v_mov_b32_e32 v18, 0x90f6747f
	v_mov_b32_e32 v19, 0x43cb90f1
	v_fmac_f64_e32 v[18:19], v[6:7], v[16:17]
	v_mov_b32_e32 v16, 0x5dde2b17
	v_mov_b32_e32 v17, 0xc3a59e41
	v_fmac_f64_e32 v[16:17], v[6:7], v[12:13]
	v_div_scale_f64 v[12:13], s[8:9], v[18:19], v[18:19], v[16:17]
	v_rcp_f64_e32 v[20:21], v[12:13]
	v_mov_b32_e32 v26, 0xd438c6b
	v_mov_b32_e32 v27, 0x425a52ba
	;; [unrolled: 1-line block ×3, first 2 shown]
	v_fma_f64 v[22:23], -v[12:13], v[20:21], 1.0
	v_fmac_f64_e32 v[20:21], v[20:21], v[22:23]
	v_fma_f64 v[22:23], -v[12:13], v[20:21], 1.0
	v_fmac_f64_e32 v[20:21], v[20:21], v[22:23]
	v_div_scale_f64 v[22:23], vcc, v[16:17], v[18:19], v[16:17]
	v_mul_f64 v[24:25], v[22:23], v[20:21]
	v_fma_f64 v[12:13], -v[12:13], v[24:25], v[22:23]
	v_mov_b32_e32 v22, 0x4cda4fc5
	v_mov_b32_e32 v23, 0xc1cad23c
	v_fmac_f64_e32 v[22:23], 0, v[6:7]
	v_fmac_f64_e32 v[26:27], v[6:7], v[22:23]
	v_mov_b32_e32 v22, 0xe6ccf175
	v_mov_b32_e32 v23, 0xc2d08a92
	v_fmac_f64_e32 v[22:23], v[6:7], v[26:27]
	v_mov_b32_e32 v26, 0x1b7086e7
	v_mov_b32_e32 v27, 0x408366b1
	v_fmac_f64_e32 v[26:27], 0, v[6:7]
	v_mov_b32_e32 v29, 0x410f5eda
	v_fmac_f64_e32 v[28:29], v[6:7], v[26:27]
	v_mov_b32_e32 v26, 0xdc92a1b1
	v_mov_b32_e32 v27, 0x4193e954
	v_fmac_f64_e32 v[26:27], v[6:7], v[28:29]
	v_mov_b32_e32 v28, 0x7befeac1
	;; [unrolled: 3-line block ×7, first 2 shown]
	v_mov_b32_e32 v27, 0x432a2b42
	v_fmac_f64_e32 v[26:27], v[6:7], v[22:23]
	v_div_scale_f64 v[6:7], s[8:9], v[28:29], v[28:29], v[26:27]
	v_rcp_f64_e32 v[22:23], v[6:7]
	v_div_fmas_f64 v[12:13], v[12:13], v[20:21], v[24:25]
	v_div_fixup_f64 v[12:13], v[12:13], v[18:19], v[16:17]
	s_mov_b32 s8, 0x55555555
	v_fma_f64 v[16:17], -v[6:7], v[22:23], 1.0
	v_fmac_f64_e32 v[22:23], v[22:23], v[16:17]
	v_fma_f64 v[16:17], -v[6:7], v[22:23], 1.0
	v_fmac_f64_e32 v[22:23], v[22:23], v[16:17]
	v_div_scale_f64 v[16:17], vcc, v[26:27], v[28:29], v[26:27]
	v_mul_f64 v[18:19], v[16:17], v[22:23]
	v_fma_f64 v[6:7], -v[6:7], v[18:19], v[16:17]
	v_mov_b32_e32 v16, 0x4189822c
	s_nop 0
	v_div_fmas_f64 v[6:7], v[6:7], v[22:23], v[18:19]
	v_div_fixup_f64 v[6:7], v[6:7], v[28:29], v[26:27]
	v_mov_b32_e32 v17, 0xc02d5d2b
	v_mul_f64 v[6:7], v[8:9], v[6:7]
	v_fmac_f64_e32 v[16:17], v[8:9], v[8:9]
	v_mul_f64 v[6:7], v[16:17], v[6:7]
	v_mov_b32_e32 v16, 0x6072a432
	v_mov_b32_e32 v17, 0xc0489bf6
	v_fmac_f64_e32 v[16:17], v[8:9], v[8:9]
	v_mul_f64 v[6:7], v[16:17], v[6:7]
	v_frexp_mant_f64_e32 v[16:17], v[8:9]
	s_mov_b32 s9, 0x3fe55555
	v_cmp_gt_f64_e32 vcc, s[8:9], v[16:17]
	s_mov_b32 s8, 0xbf559e2b
	s_mov_b32 s9, 0x3fc3ab76
	v_cndmask_b32_e64 v18, 0, 1, vcc
	v_ldexp_f64 v[16:17], v[16:17], v18
	v_add_f64 v[18:19], v[16:17], 1.0
	v_rcp_f64_e32 v[20:21], v[18:19]
	v_add_f64 v[24:25], v[18:19], -1.0
	v_add_f64 v[22:23], v[16:17], -1.0
	v_add_f64 v[16:17], v[16:17], -v[24:25]
	v_fma_f64 v[24:25], -v[18:19], v[20:21], 1.0
	v_fmac_f64_e32 v[20:21], v[24:25], v[20:21]
	v_fma_f64 v[24:25], -v[18:19], v[20:21], 1.0
	v_fmac_f64_e32 v[20:21], v[24:25], v[20:21]
	v_mul_f64 v[24:25], v[22:23], v[20:21]
	v_mul_f64 v[26:27], v[18:19], v[24:25]
	v_fma_f64 v[18:19], v[24:25], v[18:19], -v[26:27]
	v_fmac_f64_e32 v[18:19], v[24:25], v[16:17]
	v_add_f64 v[16:17], v[26:27], v[18:19]
	v_add_f64 v[28:29], v[22:23], -v[16:17]
	v_add_f64 v[26:27], v[16:17], -v[26:27]
	;; [unrolled: 1-line block ×5, first 2 shown]
	v_add_f64 v[16:17], v[18:19], v[16:17]
	v_add_f64 v[16:17], v[28:29], v[16:17]
	v_mul_f64 v[16:17], v[20:21], v[16:17]
	v_add_f64 v[18:19], v[24:25], v[16:17]
	v_add_f64 v[20:21], v[18:19], -v[24:25]
	v_add_f64 v[16:17], v[16:17], -v[20:21]
	v_mul_f64 v[20:21], v[18:19], v[18:19]
	v_mov_b32_e32 v22, 0x6b47b09a
	v_mov_b32_e32 v23, 0x3fc38538
	v_fmac_f64_e32 v[22:23], s[8:9], v[20:21]
	v_mov_b32_e32 v24, 0xd7f4df2e
	v_mov_b32_e32 v25, 0x3fc7474d
	v_fmac_f64_e32 v[24:25], v[20:21], v[22:23]
	;; [unrolled: 3-line block ×6, first 2 shown]
	v_ldexp_f64 v[22:23], v[18:19], 1
	v_mul_f64 v[18:19], v[18:19], v[20:21]
	v_mul_f64 v[18:19], v[18:19], v[24:25]
	v_add_f64 v[20:21], v[22:23], v[18:19]
	v_add_f64 v[22:23], v[20:21], -v[22:23]
	v_ldexp_f64 v[16:17], v[16:17], 1
	v_add_f64 v[18:19], v[18:19], -v[22:23]
	v_add_f64 v[16:17], v[16:17], v[18:19]
	v_frexp_exp_i32_f64_e32 v15, v[8:9]
	v_add_f64 v[18:19], v[20:21], v[16:17]
	v_subbrev_co_u32_e32 v15, vcc, 0, v15, vcc
	v_add_f64 v[20:21], v[18:19], -v[20:21]
	s_mov_b32 s8, 0xfefa39ef
	v_add_f64 v[16:17], v[16:17], -v[20:21]
	v_cvt_f64_i32_e32 v[20:21], v15
	s_mov_b32 s9, 0x3fe62e42
	v_mul_f64 v[22:23], v[20:21], s[8:9]
	v_fma_f64 v[24:25], v[20:21], s[8:9], -v[22:23]
	s_mov_b32 s8, 0x3b39803f
	s_mov_b32 s9, 0x3c7abc9e
	v_fmac_f64_e32 v[24:25], s[8:9], v[20:21]
	v_add_f64 v[20:21], v[22:23], v[24:25]
	v_add_f64 v[22:23], v[20:21], -v[22:23]
	v_add_f64 v[22:23], v[24:25], -v[22:23]
	v_add_f64 v[24:25], v[20:21], v[18:19]
	v_add_f64 v[26:27], v[24:25], -v[20:21]
	v_add_f64 v[28:29], v[24:25], -v[26:27]
	;; [unrolled: 1-line block ×4, first 2 shown]
	v_add_f64 v[18:19], v[18:19], v[20:21]
	v_add_f64 v[20:21], v[22:23], v[16:17]
	v_add_f64 v[26:27], v[20:21], -v[22:23]
	v_add_f64 v[28:29], v[20:21], -v[26:27]
	v_add_f64 v[18:19], v[20:21], v[18:19]
	v_add_f64 v[22:23], v[22:23], -v[28:29]
	v_add_f64 v[16:17], v[16:17], -v[26:27]
	v_add_f64 v[20:21], v[24:25], v[18:19]
	v_add_f64 v[16:17], v[16:17], v[22:23]
	v_add_f64 v[22:23], v[20:21], -v[24:25]
	v_div_scale_f64 v[24:25], s[8:9], v[8:9], v[8:9], -1.0
	v_rcp_f64_e32 v[26:27], v[24:25]
	v_add_f64 v[18:19], v[18:19], -v[22:23]
	v_add_f64 v[16:17], v[16:17], v[18:19]
	v_add_f64 v[16:17], v[20:21], v[16:17]
	v_fma_f64 v[18:19], -v[24:25], v[26:27], 1.0
	v_fmac_f64_e32 v[26:27], v[26:27], v[18:19]
	v_fma_f64 v[18:19], -v[24:25], v[26:27], 1.0
	v_fmac_f64_e32 v[26:27], v[26:27], v[18:19]
	v_div_scale_f64 v[18:19], vcc, -1.0, v[8:9], -1.0
	v_mul_f64 v[20:21], v[18:19], v[26:27]
	v_fma_f64 v[18:19], -v[24:25], v[20:21], v[18:19]
	s_mov_b32 s8, 0x6dc9c883
	s_nop 0
	v_div_fmas_f64 v[18:19], v[18:19], v[26:27], v[20:21]
	v_div_fixup_f64 v[18:19], v[18:19], v[8:9], -1.0
	v_fmac_f64_e32 v[18:19], v[6:7], v[16:17]
	s_mov_b32 s9, 0x3fe45f30
	v_mul_f64 v[6:7], v[18:19], s[8:9]
	v_fmac_f64_e32 v[6:7], v[8:9], v[12:13]
.LBB1_4:
	s_or_b64 exec, exec, s[6:7]
.LBB1_5:
	s_or_b64 exec, exec, s[4:5]
.LBB1_6:
	s_andn2_saveexec_b64 s[4:5], s[0:1]
	s_cbranch_execz .LBB1_16
; %bb.7:
	s_mov_b32 s0, 0x7f3321d2
	s_mov_b32 s1, 0xc002d97c
	v_add_f64 v[6:7], v[8:9], s[0:1]
	s_mov_b32 s0, 0
	s_mov_b32 s1, 0x41d00000
	v_cmp_nlt_f64_e64 s[6:7], |v[6:7]|, s[0:1]
	v_trig_preop_f64 v[26:27], |v[6:7]|, 0
	v_trig_preop_f64 v[24:25], |v[6:7]|, 1
	;; [unrolled: 1-line block ×3, first 2 shown]
                                        ; implicit-def: $vgpr15
                                        ; implicit-def: $vgpr12_vgpr13
                                        ; implicit-def: $vgpr16_vgpr17
	s_and_saveexec_b64 s[0:1], s[6:7]
	s_xor_b64 s[8:9], exec, s[0:1]
	s_cbranch_execz .LBB1_9
; %bb.8:
	s_mov_b32 s0, 0
	s_mov_b32 s1, 0x7b000000
	s_movk_i32 s10, 0xff80
	v_and_b32_e32 v15, 0x7fffffff, v7
	v_ldexp_f64 v[12:13], |v[6:7]|, s10
	v_cmp_ge_f64_e64 vcc, |v[6:7]|, s[0:1]
	s_mov_b32 s0, 0
	s_mov_b32 s1, 0x7ff00000
	v_cndmask_b32_e32 v13, v15, v13, vcc
	v_cndmask_b32_e32 v12, v6, v12, vcc
	v_mul_f64 v[18:19], v[26:27], v[12:13]
	v_mul_f64 v[16:17], v[24:25], v[12:13]
	v_fma_f64 v[20:21], v[26:27], v[12:13], -v[18:19]
	v_add_f64 v[28:29], v[16:17], v[20:21]
	v_add_f64 v[36:37], v[28:29], -v[16:17]
	v_add_f64 v[20:21], v[20:21], -v[36:37]
	;; [unrolled: 1-line block ×4, first 2 shown]
	v_add_f64 v[20:21], v[20:21], v[36:37]
	v_fma_f64 v[16:17], v[24:25], v[12:13], -v[16:17]
	v_mul_f64 v[36:37], v[22:23], v[12:13]
	v_add_f64 v[38:39], v[36:37], v[16:17]
	v_add_f64 v[30:31], v[18:19], v[28:29]
	;; [unrolled: 1-line block ×3, first 2 shown]
	v_ldexp_f64 v[32:33], v[30:31], -2
	v_add_f64 v[18:19], v[30:31], -v[18:19]
	v_add_f64 v[30:31], v[48:49], -v[38:39]
	v_add_f64 v[20:21], v[20:21], -v[30:31]
	v_add_f64 v[30:31], v[48:49], -v[30:31]
	v_add_f64 v[30:31], v[38:39], -v[30:31]
	v_add_f64 v[20:21], v[20:21], v[30:31]
	v_add_f64 v[30:31], v[38:39], -v[36:37]
	v_add_f64 v[16:17], v[16:17], -v[30:31]
	;; [unrolled: 1-line block ×5, first 2 shown]
	v_add_f64 v[16:17], v[16:17], v[30:31]
	v_fract_f64_e32 v[34:35], v[32:33]
	v_add_f64 v[28:29], v[18:19], v[48:49]
	v_add_f64 v[16:17], v[16:17], v[20:21]
	v_fma_f64 v[12:13], v[22:23], v[12:13], -v[36:37]
	v_add_f64 v[18:19], v[28:29], -v[18:19]
	v_add_f64 v[12:13], v[12:13], v[16:17]
	v_ldexp_f64 v[16:17], v[34:35], 2
	v_cmp_neq_f64_e64 vcc, |v[32:33]|, s[0:1]
	v_add_f64 v[18:19], v[48:49], -v[18:19]
	v_add_f64 v[12:13], v[18:19], v[12:13]
	v_cndmask_b32_e32 v17, 0, v17, vcc
	v_cndmask_b32_e32 v16, 0, v16, vcc
	v_add_f64 v[18:19], v[28:29], v[16:17]
	v_mov_b32_e32 v15, 0x40100000
	v_cmp_gt_f64_e32 vcc, 0, v[18:19]
	v_mov_b32_e32 v18, 0
	s_mov_b32 s10, 0x33145c07
	v_cndmask_b32_e32 v19, 0, v15, vcc
	v_add_f64 v[16:17], v[16:17], v[18:19]
	v_add_f64 v[20:21], v[28:29], v[16:17]
	v_cvt_i32_f64_e32 v15, v[20:21]
	v_cvt_f64_i32_e32 v[20:21], v15
	v_add_f64 v[16:17], v[16:17], -v[20:21]
	v_add_f64 v[20:21], v[28:29], v[16:17]
	v_add_f64 v[16:17], v[20:21], -v[16:17]
	v_add_f64 v[16:17], v[28:29], -v[16:17]
	v_add_f64 v[12:13], v[12:13], v[16:17]
	v_cmp_le_f64_e32 vcc, 0.5, v[20:21]
	v_mov_b32_e32 v16, 0x3ff00000
	s_mov_b32 s11, 0x3c91a626
	v_cndmask_b32_e32 v19, 0, v16, vcc
	v_addc_co_u32_e64 v15, s[0:1], 0, v15, vcc
	v_add_f64 v[16:17], v[20:21], -v[18:19]
	v_add_f64 v[18:19], v[16:17], v[12:13]
	s_mov_b32 s0, 0x54442d18
	v_add_f64 v[16:17], v[18:19], -v[16:17]
	s_mov_b32 s1, 0x3ff921fb
	v_add_f64 v[12:13], v[12:13], -v[16:17]
	v_mul_f64 v[16:17], v[18:19], s[0:1]
	v_fma_f64 v[20:21], v[18:19], s[0:1], -v[16:17]
	v_fmac_f64_e32 v[20:21], s[10:11], v[18:19]
	v_fmac_f64_e32 v[20:21], s[0:1], v[12:13]
	v_add_f64 v[12:13], v[16:17], v[20:21]
	v_add_f64 v[16:17], v[12:13], -v[16:17]
	v_add_f64 v[16:17], v[20:21], -v[16:17]
	s_andn2_saveexec_b64 s[0:1], s[8:9]
	s_cbranch_execz .LBB1_11
	s_branch .LBB1_10
.LBB1_9:
	s_andn2_saveexec_b64 s[0:1], s[8:9]
	s_cbranch_execz .LBB1_11
.LBB1_10:
	s_mov_b32 s8, 0x6dc9c883
	s_mov_b32 s9, 0x3fe45f30
	v_mul_f64 v[12:13], |v[6:7]|, s[8:9]
	s_mov_b32 s8, 0x54442d18
	v_rndne_f64_e32 v[18:19], v[12:13]
	s_mov_b32 s9, 0xbff921fb
	v_fma_f64 v[12:13], v[18:19], s[8:9], |v[6:7]|
	s_mov_b32 s9, 0xbc91a626
	s_mov_b32 s8, 0x33145c00
	v_mul_f64 v[20:21], v[18:19], s[8:9]
	v_add_f64 v[30:31], v[12:13], v[20:21]
	v_fma_f64 v[16:17], s[8:9], v[18:19], v[12:13]
	s_mov_b32 s9, 0x3c91a626
	v_add_f64 v[12:13], v[12:13], -v[30:31]
	v_fma_f64 v[28:29], s[8:9], v[18:19], v[20:21]
	v_add_f64 v[12:13], v[12:13], v[20:21]
	v_add_f64 v[20:21], v[30:31], -v[16:17]
	v_add_f64 v[12:13], v[20:21], v[12:13]
	s_mov_b32 s8, 0x252049c0
	v_add_f64 v[20:21], v[12:13], -v[28:29]
	s_mov_b32 s9, 0xb97b839a
	v_fmac_f64_e32 v[20:21], s[8:9], v[18:19]
	v_add_f64 v[12:13], v[16:17], v[20:21]
	v_add_f64 v[16:17], v[12:13], -v[16:17]
	v_add_f64 v[16:17], v[20:21], -v[16:17]
	v_cvt_i32_f64_e32 v15, v[18:19]
.LBB1_11:
	s_or_b64 exec, exec, s[0:1]
                                        ; implicit-def: $vgpr28
                                        ; implicit-def: $vgpr18_vgpr19
                                        ; implicit-def: $vgpr20_vgpr21
	s_and_saveexec_b64 s[0:1], s[6:7]
	s_xor_b64 s[6:7], exec, s[0:1]
	s_cbranch_execz .LBB1_13
; %bb.12:
	s_mov_b32 s0, 0
	s_mov_b32 s1, 0x7b000000
	s_movk_i32 s8, 0xff80
	v_and_b32_e32 v20, 0x7fffffff, v7
	v_ldexp_f64 v[18:19], |v[6:7]|, s8
	v_cmp_ge_f64_e64 vcc, |v[6:7]|, s[0:1]
	s_mov_b32 s0, 0
	s_mov_b32 s1, 0x7ff00000
	v_cndmask_b32_e32 v19, v20, v19, vcc
	v_cndmask_b32_e32 v18, v6, v18, vcc
	v_mul_f64 v[28:29], v[26:27], v[18:19]
	v_mul_f64 v[20:21], v[24:25], v[18:19]
	v_fma_f64 v[26:27], v[26:27], v[18:19], -v[28:29]
	v_add_f64 v[30:31], v[20:21], v[26:27]
	v_add_f64 v[38:39], v[30:31], -v[20:21]
	v_add_f64 v[26:27], v[26:27], -v[38:39]
	;; [unrolled: 1-line block ×4, first 2 shown]
	v_fma_f64 v[20:21], v[24:25], v[18:19], -v[20:21]
	v_mul_f64 v[24:25], v[22:23], v[18:19]
	v_add_f64 v[26:27], v[26:27], v[38:39]
	v_add_f64 v[38:39], v[24:25], v[20:21]
	v_add_f64 v[32:33], v[28:29], v[30:31]
	v_add_f64 v[48:49], v[38:39], v[26:27]
	v_ldexp_f64 v[34:35], v[32:33], -2
	v_add_f64 v[28:29], v[32:33], -v[28:29]
	v_add_f64 v[32:33], v[48:49], -v[38:39]
	;; [unrolled: 1-line block ×5, first 2 shown]
	v_add_f64 v[26:27], v[26:27], v[32:33]
	v_add_f64 v[32:33], v[38:39], -v[24:25]
	v_add_f64 v[20:21], v[20:21], -v[32:33]
	;; [unrolled: 1-line block ×4, first 2 shown]
	v_add_f64 v[20:21], v[20:21], v[32:33]
	v_fract_f64_e32 v[36:37], v[34:35]
	v_add_f64 v[20:21], v[20:21], v[26:27]
	v_fma_f64 v[18:19], v[22:23], v[18:19], -v[24:25]
	v_add_f64 v[28:29], v[30:31], -v[28:29]
	v_add_f64 v[18:19], v[18:19], v[20:21]
	v_ldexp_f64 v[20:21], v[36:37], 2
	v_cmp_neq_f64_e64 vcc, |v[34:35]|, s[0:1]
	v_add_f64 v[30:31], v[28:29], v[48:49]
	v_mov_b32_e32 v24, 0x40100000
	v_cndmask_b32_e32 v21, 0, v21, vcc
	v_cndmask_b32_e32 v20, 0, v20, vcc
	v_add_f64 v[22:23], v[30:31], v[20:21]
	v_cmp_gt_f64_e32 vcc, 0, v[22:23]
	v_mov_b32_e32 v22, 0
	v_add_f64 v[28:29], v[30:31], -v[28:29]
	v_cndmask_b32_e32 v23, 0, v24, vcc
	v_add_f64 v[20:21], v[20:21], v[22:23]
	v_add_f64 v[24:25], v[30:31], v[20:21]
	v_cvt_i32_f64_e32 v23, v[24:25]
	v_cvt_f64_i32_e32 v[24:25], v23
	v_add_f64 v[20:21], v[20:21], -v[24:25]
	v_add_f64 v[24:25], v[30:31], v[20:21]
	v_add_f64 v[28:29], v[48:49], -v[28:29]
	v_add_f64 v[20:21], v[24:25], -v[20:21]
	v_add_f64 v[18:19], v[28:29], v[18:19]
	v_add_f64 v[20:21], v[30:31], -v[20:21]
	v_add_f64 v[18:19], v[18:19], v[20:21]
	v_cmp_le_f64_e32 vcc, 0.5, v[24:25]
	v_mov_b32_e32 v20, 0x3ff00000
	s_mov_b32 s8, 0x33145c07
	v_addc_co_u32_e64 v28, s[0:1], 0, v23, vcc
	v_cndmask_b32_e32 v23, 0, v20, vcc
	v_add_f64 v[20:21], v[24:25], -v[22:23]
	v_add_f64 v[22:23], v[20:21], v[18:19]
	s_mov_b32 s0, 0x54442d18
	v_add_f64 v[20:21], v[22:23], -v[20:21]
	s_mov_b32 s1, 0x3ff921fb
	v_add_f64 v[18:19], v[18:19], -v[20:21]
	v_mul_f64 v[20:21], v[22:23], s[0:1]
	v_fma_f64 v[24:25], v[22:23], s[0:1], -v[20:21]
	s_mov_b32 s9, 0x3c91a626
	v_fmac_f64_e32 v[24:25], s[8:9], v[22:23]
	v_fmac_f64_e32 v[24:25], s[0:1], v[18:19]
	v_add_f64 v[18:19], v[20:21], v[24:25]
	v_add_f64 v[20:21], v[18:19], -v[20:21]
	v_add_f64 v[20:21], v[24:25], -v[20:21]
	s_andn2_saveexec_b64 s[0:1], s[6:7]
	s_cbranch_execnz .LBB1_14
	s_branch .LBB1_15
.LBB1_13:
	s_andn2_saveexec_b64 s[0:1], s[6:7]
	s_cbranch_execz .LBB1_15
.LBB1_14:
	s_mov_b32 s6, 0x6dc9c883
	s_mov_b32 s7, 0x3fe45f30
	v_mul_f64 v[18:19], |v[6:7]|, s[6:7]
	s_mov_b32 s6, 0x54442d18
	v_rndne_f64_e32 v[22:23], v[18:19]
	s_mov_b32 s7, 0xbff921fb
	v_fma_f64 v[18:19], v[22:23], s[6:7], |v[6:7]|
	s_mov_b32 s7, 0xbc91a626
	s_mov_b32 s6, 0x33145c00
	v_mul_f64 v[24:25], v[22:23], s[6:7]
	v_add_f64 v[28:29], v[18:19], v[24:25]
	v_fma_f64 v[20:21], s[6:7], v[22:23], v[18:19]
	s_mov_b32 s7, 0x3c91a626
	v_add_f64 v[18:19], v[18:19], -v[28:29]
	v_fma_f64 v[26:27], s[6:7], v[22:23], v[24:25]
	v_add_f64 v[18:19], v[18:19], v[24:25]
	v_add_f64 v[24:25], v[28:29], -v[20:21]
	v_add_f64 v[18:19], v[24:25], v[18:19]
	s_mov_b32 s6, 0x252049c0
	v_add_f64 v[24:25], v[18:19], -v[26:27]
	s_mov_b32 s7, 0xb97b839a
	v_fmac_f64_e32 v[24:25], s[6:7], v[22:23]
	v_add_f64 v[18:19], v[20:21], v[24:25]
	v_add_f64 v[20:21], v[18:19], -v[20:21]
	v_add_f64 v[20:21], v[24:25], -v[20:21]
	v_cvt_i32_f64_e32 v28, v[22:23]
.LBB1_15:
	s_or_b64 exec, exec, s[0:1]
	s_mov_b32 s0, 0
	s_mov_b32 s1, 0x40140000
	v_div_scale_f64 v[22:23], s[6:7], v[8:9], v[8:9], s[0:1]
	v_rcp_f64_e32 v[24:25], v[22:23]
	v_mov_b32_e32 v32, 0x5948aa83
	v_mov_b32_e32 v33, 0x3fb19fdd
	;; [unrolled: 1-line block ×3, first 2 shown]
	v_fma_f64 v[26:27], -v[22:23], v[24:25], 1.0
	v_fmac_f64_e32 v[24:25], v[24:25], v[26:27]
	v_fma_f64 v[26:27], -v[22:23], v[24:25], 1.0
	v_fmac_f64_e32 v[24:25], v[24:25], v[26:27]
	v_div_scale_f64 v[26:27], vcc, s[0:1], v[8:9], s[0:1]
	v_mul_f64 v[30:31], v[26:27], v[24:25]
	v_fma_f64 v[22:23], -v[22:23], v[30:31], v[26:27]
	v_mov_b32_e32 v26, 0x4c6c651b
	s_nop 0
	v_div_fmas_f64 v[22:23], v[22:23], v[24:25], v[30:31]
	v_div_fixup_f64 v[22:23], v[22:23], v[8:9], s[0:1]
	v_mul_f64 v[24:25], v[22:23], v[22:23]
	v_mov_b32_e32 v27, 0x3f48f92c
	v_fmac_f64_e32 v[26:27], 0, v[24:25]
	v_mov_b32_e32 v30, 0xa3fec4b6
	v_mov_b32_e32 v31, 0x3fb2b948
	v_fmac_f64_e32 v[30:31], v[24:25], v[26:27]
	v_mov_b32_e32 v26, 0xc21596d6
	;; [unrolled: 3-line block ×6, first 2 shown]
	v_mov_b32_e32 v27, 0x3f42b89b
	v_fmac_f64_e32 v[26:27], 0, v[24:25]
	v_fmac_f64_e32 v[32:33], v[24:25], v[26:27]
	v_mov_b32_e32 v26, 0xb850eed6
	v_mov_b32_e32 v27, 0x3ff1aea9
	v_fmac_f64_e32 v[26:27], v[24:25], v[32:33]
	v_mov_b32_e32 v32, 0xf7d251a1
	v_mov_b32_e32 v33, 0x40144ba2
	;; [unrolled: 3-line block ×4, first 2 shown]
	v_fmac_f64_e32 v[32:33], v[24:25], v[26:27]
	v_fma_f64 v[26:27], v[24:25], v[32:33], 1.0
	v_mov_b32_e32 v32, 0x6b70ba40
	v_mov_b32_e32 v33, 0x3faa27fa
	v_fmac_f64_e32 v[32:33], 0, v[24:25]
	v_mov_b32_e32 v35, 0x4013edb5
	v_fmac_f64_e32 v[34:35], v[24:25], v[32:33]
	v_mov_b32_e32 v32, 0x9acf1c67
	v_mov_b32_e32 v33, 0x4052f4b9
	v_fmac_f64_e32 v[32:33], v[24:25], v[34:35]
	v_mov_b32_e32 v34, 0x47aa180d
	;; [unrolled: 3-line block ×12, first 2 shown]
	v_mov_b32_e32 v37, 0x40a61462
	v_fma_f64 v[30:31], v[24:25], v[30:31], 1.0
	v_fmac_f64_e32 v[36:37], v[24:25], v[32:33]
	v_div_scale_f64 v[32:33], s[0:1], v[26:27], v[26:27], v[30:31]
	v_rcp_f64_e32 v[38:39], v[32:33]
	v_mov_b32_e32 v48, 0x6ae75997
	v_mov_b32_e32 v49, 0x4075017f
	v_fmac_f64_e32 v[48:49], v[24:25], v[36:37]
	v_fma_f64 v[24:25], -v[32:33], v[38:39], 1.0
	v_fmac_f64_e32 v[38:39], v[38:39], v[24:25]
	v_fma_f64 v[24:25], -v[32:33], v[38:39], 1.0
	v_fmac_f64_e32 v[38:39], v[38:39], v[24:25]
	v_div_scale_f64 v[24:25], vcc, v[30:31], v[26:27], v[30:31]
	v_mul_f64 v[36:37], v[24:25], v[38:39]
	v_fma_f64 v[24:25], -v[32:33], v[36:37], v[24:25]
	s_mov_b32 s0, 0x9037ab78
	s_nop 0
	v_div_fmas_f64 v[24:25], v[24:25], v[38:39], v[36:37]
	s_mov_b32 s1, 0x3e21eeb6
	s_mov_b32 s6, 0x46cc5e42
	v_div_fixup_f64 v[24:25], v[24:25], v[26:27], v[30:31]
	v_mul_f64 v[26:27], v[12:13], v[12:13]
	s_mov_b32 s7, 0xbda907db
	v_mov_b64_e32 v[38:39], s[0:1]
	s_mov_b32 s8, 0xa17f65f6
	v_mul_f64 v[30:31], v[26:27], 0.5
	v_fma_f64 v[50:51], s[6:7], v[26:27], v[38:39]
	s_mov_b32 s9, 0xbe927e4f
	s_mov_b32 s10, 0x19f4ec90
	v_add_f64 v[32:33], -v[30:31], 1.0
	v_fma_f64 v[50:51], v[26:27], v[50:51], s[8:9]
	s_mov_b32 s11, 0x3efa01a0
	s_mov_b32 s12, 0x16c16967
	v_add_f64 v[36:37], -v[32:33], 1.0
	v_fma_f64 v[50:51], v[26:27], v[50:51], s[10:11]
	s_mov_b32 s13, 0xbf56c16c
	s_mov_b32 s14, 0x55555555
	v_add_f64 v[30:31], v[36:37], -v[30:31]
	v_fma_f64 v[50:51], v[26:27], v[50:51], s[12:13]
	s_mov_b32 s15, 0x3fa55555
	v_mul_f64 v[36:37], v[26:27], v[26:27]
	v_fma_f64 v[50:51], v[26:27], v[50:51], s[14:15]
	v_fma_f64 v[30:31], v[12:13], -v[16:17], v[30:31]
	s_mov_b32 s0, 0xb42fdfa7
	v_fmac_f64_e32 v[30:31], v[36:37], v[50:51]
	s_mov_b32 s1, 0xbe5ae600
	s_mov_b32 s16, 0xf9a43bb8
	v_add_f64 v[30:31], v[32:33], v[30:31]
	s_mov_b32 s17, 0x3de5e0b2
	v_mov_b64_e32 v[32:33], s[0:1]
	s_mov_b32 s18, 0x796cde01
	v_fma_f64 v[36:37], s[16:17], v[26:27], v[32:33]
	s_mov_b32 s19, 0x3ec71de3
	s_mov_b32 s20, 0x19e83e5c
	v_fma_f64 v[36:37], v[26:27], v[36:37], s[18:19]
	s_mov_b32 s21, 0xbf2a01a0
	;; [unrolled: 3-line block ×3, first 2 shown]
	v_fma_f64 v[36:37], v[26:27], v[36:37], s[22:23]
	v_mul_f64 v[50:51], v[12:13], -v[26:27]
	v_mul_f64 v[52:53], v[16:17], 0.5
	v_fmac_f64_e32 v[52:53], v[50:51], v[36:37]
	v_fma_f64 v[16:17], v[26:27], v[52:53], -v[16:17]
	s_mov_b32 s25, 0xbfc55555
	s_mov_b32 s24, s14
	v_fmac_f64_e32 v[16:17], s[24:25], v[50:51]
	v_add_f64 v[12:13], v[12:13], -v[16:17]
	v_and_b32_e32 v16, 1, v15
	v_cmp_eq_u32_e32 vcc, 0, v16
	s_brev_b32 s26, 1
	s_movk_i32 s27, 0x1f8
	v_cndmask_b32_e32 v26, v30, v12, vcc
	v_cndmask_b32_e32 v12, v31, v13, vcc
	v_lshlrev_b32_e32 v13, 30, v15
	v_xor_b32_e32 v13, v13, v7
	v_bitop3_b32 v15, v12, v13, s26 bitop3:0x78
	v_div_scale_f64 v[12:13], s[0:1], v[48:49], v[48:49], v[34:35]
	v_rcp_f64_e32 v[16:17], v[12:13]
	v_cmp_class_f64_e64 s[0:1], v[6:7], s27
	v_mov_b32_e32 v29, 0x7ff80000
	s_nop 0
	v_cndmask_b32_e64 v6, 0, v26, s[0:1]
	v_fma_f64 v[26:27], -v[12:13], v[16:17], 1.0
	v_fmac_f64_e32 v[16:17], v[16:17], v[26:27]
	v_fma_f64 v[26:27], -v[12:13], v[16:17], 1.0
	v_fmac_f64_e32 v[16:17], v[16:17], v[26:27]
	v_div_scale_f64 v[26:27], vcc, v[34:35], v[48:49], v[34:35]
	v_mul_f64 v[30:31], v[26:27], v[16:17]
	v_fma_f64 v[12:13], -v[12:13], v[30:31], v[26:27]
	v_cndmask_b32_e64 v7, v29, v15, s[0:1]
	s_nop 0
	v_div_fmas_f64 v[12:13], v[12:13], v[16:17], v[30:31]
	v_div_fixup_f64 v[12:13], v[12:13], v[48:49], v[34:35]
	v_mul_f64 v[16:17], v[18:19], v[18:19]
	v_mul_f64 v[12:13], v[22:23], v[12:13]
	v_mul_f64 v[22:23], v[16:17], 0.5
	v_fmac_f64_e32 v[38:39], s[6:7], v[16:17]
	v_add_f64 v[26:27], -v[22:23], 1.0
	v_fma_f64 v[34:35], v[16:17], v[38:39], s[8:9]
	v_add_f64 v[30:31], -v[26:27], 1.0
	v_fma_f64 v[34:35], v[16:17], v[34:35], s[10:11]
	v_add_f64 v[22:23], v[30:31], -v[22:23]
	v_fma_f64 v[34:35], v[16:17], v[34:35], s[12:13]
	v_mul_f64 v[30:31], v[16:17], v[16:17]
	v_fma_f64 v[34:35], v[16:17], v[34:35], s[14:15]
	v_fma_f64 v[22:23], v[18:19], -v[20:21], v[22:23]
	v_fmac_f64_e32 v[22:23], v[30:31], v[34:35]
	v_fmac_f64_e32 v[32:33], s[16:17], v[16:17]
	v_add_f64 v[22:23], v[26:27], v[22:23]
	v_fma_f64 v[26:27], v[16:17], v[32:33], s[18:19]
	v_fma_f64 v[26:27], v[16:17], v[26:27], s[20:21]
	;; [unrolled: 1-line block ×3, first 2 shown]
	v_mul_f64 v[30:31], v[18:19], -v[16:17]
	v_mul_f64 v[32:33], v[20:21], 0.5
	v_fmac_f64_e32 v[32:33], v[30:31], v[26:27]
	v_fma_f64 v[16:17], v[16:17], v[32:33], -v[20:21]
	v_fmac_f64_e32 v[16:17], s[24:25], v[30:31]
	v_add_f64 v[16:17], v[18:19], -v[16:17]
	v_xor_b32_e32 v15, 0x80000000, v17
	v_and_b32_e32 v17, 1, v28
	v_cmp_eq_u32_e32 vcc, 0, v17
	v_lshlrev_b32_e32 v17, 30, v28
	s_nop 0
	v_cndmask_b32_e32 v15, v15, v23, vcc
	v_cndmask_b32_e32 v16, v16, v22, vcc
	v_bitop3_b32 v15, v15, v17, s26 bitop3:0x78
	v_cndmask_b32_e64 v16, 0, v16, s[0:1]
	v_cndmask_b32_e64 v17, v29, v15, s[0:1]
	s_mov_b32 s0, 0
	v_mul_f64 v[12:13], v[12:13], v[16:17]
	s_brev_b32 s1, 8
	v_fmac_f64_e32 v[12:13], v[24:25], v[6:7]
	v_mov_b32_e32 v6, 0x100
	v_cmp_gt_f64_e32 vcc, s[0:1], v[8:9]
	s_mov_b32 s0, 0x33d43651
	v_mov_b32_e32 v15, 0x260
	v_cndmask_b32_e32 v6, 0, v6, vcc
	v_ldexp_f64 v[6:7], v[8:9], v6
	v_rsq_f64_e32 v[8:9], v[6:7]
	s_mov_b32 s1, 0x3fe98845
	v_mul_f64 v[12:13], v[12:13], s[0:1]
	v_mul_f64 v[16:17], v[6:7], v[8:9]
	v_mul_f64 v[8:9], v[8:9], 0.5
	v_fma_f64 v[18:19], -v[8:9], v[16:17], 0.5
	v_fmac_f64_e32 v[16:17], v[16:17], v[18:19]
	v_fma_f64 v[20:21], -v[16:17], v[16:17], v[6:7]
	v_fmac_f64_e32 v[8:9], v[8:9], v[18:19]
	v_fmac_f64_e32 v[16:17], v[20:21], v[8:9]
	v_fma_f64 v[18:19], -v[16:17], v[16:17], v[6:7]
	v_fmac_f64_e32 v[16:17], v[18:19], v[8:9]
	v_mov_b32_e32 v8, 0xffffff80
	v_cndmask_b32_e32 v8, 0, v8, vcc
	v_ldexp_f64 v[8:9], v[16:17], v8
	v_cmp_class_f64_e32 vcc, v[6:7], v15
	s_nop 1
	v_cndmask_b32_e32 v7, v9, v7, vcc
	v_cndmask_b32_e32 v6, v8, v6, vcc
	v_div_scale_f64 v[8:9], s[0:1], v[6:7], v[6:7], v[12:13]
	v_rcp_f64_e32 v[16:17], v[8:9]
	s_nop 0
	v_fma_f64 v[18:19], -v[8:9], v[16:17], 1.0
	v_fmac_f64_e32 v[16:17], v[16:17], v[18:19]
	v_fma_f64 v[18:19], -v[8:9], v[16:17], 1.0
	v_fmac_f64_e32 v[16:17], v[16:17], v[18:19]
	v_div_scale_f64 v[18:19], vcc, v[12:13], v[6:7], v[12:13]
	v_mul_f64 v[20:21], v[18:19], v[16:17]
	v_fma_f64 v[8:9], -v[8:9], v[20:21], v[18:19]
	s_nop 1
	v_div_fmas_f64 v[8:9], v[8:9], v[16:17], v[20:21]
	v_div_fixup_f64 v[6:7], v[8:9], v[6:7], v[12:13]
.LBB1_16:
	s_or_b64 exec, exec, s[4:5]
	s_mov_b32 s0, 0
	s_mov_b32 s1, 0x40140000
	v_cmp_ge_f64_e32 vcc, s[0:1], v[10:11]
	s_and_saveexec_b64 s[0:1], vcc
	s_xor_b64 s[0:1], exec, s[0:1]
	s_cbranch_execz .LBB1_22
; %bb.17:
	v_mov_b32_e32 v8, 0
	v_cmp_neq_f64_e32 vcc, 0, v[10:11]
	v_mov_b32_e32 v9, 0xfff00000
	s_and_saveexec_b64 s[4:5], vcc
	s_cbranch_execz .LBB1_21
; %bb.18:
	v_mov_b32_e32 v8, 0
	v_cmp_nge_f64_e32 vcc, 0, v[10:11]
	v_mov_b32_e32 v9, 0x7ff80000
	s_and_saveexec_b64 s[6:7], vcc
	s_cbranch_execz .LBB1_20
; %bb.19:
	v_mul_f64 v[8:9], v[10:11], v[10:11]
	v_mov_b32_e32 v12, 0x62f9b6c5
	v_mov_b32_e32 v13, 0x41d2d2be
	v_fmac_f64_e32 v[12:13], 0, v[8:9]
	v_mov_b32_e32 v16, 0x58836521
	v_mov_b32_e32 v17, 0xc262d72d
	v_fmac_f64_e32 v[16:17], v[8:9], v[12:13]
	;; [unrolled: 3-line block ×14, first 2 shown]
	v_div_scale_f64 v[12:13], s[8:9], v[18:19], v[18:19], v[16:17]
	v_rcp_f64_e32 v[20:21], v[12:13]
	v_mov_b32_e32 v26, 0xd438c6b
	v_mov_b32_e32 v27, 0x425a52ba
	;; [unrolled: 1-line block ×3, first 2 shown]
	v_fma_f64 v[22:23], -v[12:13], v[20:21], 1.0
	v_fmac_f64_e32 v[20:21], v[20:21], v[22:23]
	v_fma_f64 v[22:23], -v[12:13], v[20:21], 1.0
	v_fmac_f64_e32 v[20:21], v[20:21], v[22:23]
	v_div_scale_f64 v[22:23], vcc, v[16:17], v[18:19], v[16:17]
	v_mul_f64 v[24:25], v[22:23], v[20:21]
	v_fma_f64 v[12:13], -v[12:13], v[24:25], v[22:23]
	v_mov_b32_e32 v22, 0x4cda4fc5
	v_mov_b32_e32 v23, 0xc1cad23c
	v_fmac_f64_e32 v[22:23], 0, v[8:9]
	v_fmac_f64_e32 v[26:27], v[8:9], v[22:23]
	v_mov_b32_e32 v22, 0xe6ccf175
	v_mov_b32_e32 v23, 0xc2d08a92
	v_fmac_f64_e32 v[22:23], v[8:9], v[26:27]
	v_mov_b32_e32 v26, 0x1b7086e7
	v_mov_b32_e32 v27, 0x408366b1
	v_fmac_f64_e32 v[26:27], 0, v[8:9]
	v_mov_b32_e32 v29, 0x410f5eda
	v_fmac_f64_e32 v[28:29], v[8:9], v[26:27]
	v_mov_b32_e32 v26, 0xdc92a1b1
	v_mov_b32_e32 v27, 0x4193e954
	v_fmac_f64_e32 v[26:27], v[8:9], v[28:29]
	v_mov_b32_e32 v28, 0x7befeac1
	;; [unrolled: 3-line block ×7, first 2 shown]
	v_mov_b32_e32 v27, 0x432a2b42
	v_fmac_f64_e32 v[26:27], v[8:9], v[22:23]
	v_div_scale_f64 v[8:9], s[8:9], v[28:29], v[28:29], v[26:27]
	v_rcp_f64_e32 v[22:23], v[8:9]
	v_div_fmas_f64 v[12:13], v[12:13], v[20:21], v[24:25]
	v_div_fixup_f64 v[12:13], v[12:13], v[18:19], v[16:17]
	s_mov_b32 s8, 0x55555555
	v_fma_f64 v[16:17], -v[8:9], v[22:23], 1.0
	v_fmac_f64_e32 v[22:23], v[22:23], v[16:17]
	v_fma_f64 v[16:17], -v[8:9], v[22:23], 1.0
	v_fmac_f64_e32 v[22:23], v[22:23], v[16:17]
	v_div_scale_f64 v[16:17], vcc, v[26:27], v[28:29], v[26:27]
	v_mul_f64 v[18:19], v[16:17], v[22:23]
	v_fma_f64 v[8:9], -v[8:9], v[18:19], v[16:17]
	v_mov_b32_e32 v16, 0x4189822c
	s_nop 0
	v_div_fmas_f64 v[8:9], v[8:9], v[22:23], v[18:19]
	v_div_fixup_f64 v[8:9], v[8:9], v[28:29], v[26:27]
	v_mov_b32_e32 v17, 0xc02d5d2b
	v_mul_f64 v[8:9], v[10:11], v[8:9]
	v_fmac_f64_e32 v[16:17], v[10:11], v[10:11]
	v_mul_f64 v[8:9], v[16:17], v[8:9]
	v_mov_b32_e32 v16, 0x6072a432
	v_mov_b32_e32 v17, 0xc0489bf6
	v_fmac_f64_e32 v[16:17], v[10:11], v[10:11]
	v_mul_f64 v[8:9], v[16:17], v[8:9]
	v_frexp_mant_f64_e32 v[16:17], v[10:11]
	s_mov_b32 s9, 0x3fe55555
	v_cmp_gt_f64_e32 vcc, s[8:9], v[16:17]
	s_mov_b32 s8, 0xbf559e2b
	s_mov_b32 s9, 0x3fc3ab76
	v_cndmask_b32_e64 v18, 0, 1, vcc
	v_ldexp_f64 v[16:17], v[16:17], v18
	v_add_f64 v[18:19], v[16:17], 1.0
	v_rcp_f64_e32 v[20:21], v[18:19]
	v_add_f64 v[24:25], v[18:19], -1.0
	v_add_f64 v[22:23], v[16:17], -1.0
	v_add_f64 v[16:17], v[16:17], -v[24:25]
	v_fma_f64 v[24:25], -v[18:19], v[20:21], 1.0
	v_fmac_f64_e32 v[20:21], v[24:25], v[20:21]
	v_fma_f64 v[24:25], -v[18:19], v[20:21], 1.0
	v_fmac_f64_e32 v[20:21], v[24:25], v[20:21]
	v_mul_f64 v[24:25], v[22:23], v[20:21]
	v_mul_f64 v[26:27], v[18:19], v[24:25]
	v_fma_f64 v[18:19], v[24:25], v[18:19], -v[26:27]
	v_fmac_f64_e32 v[18:19], v[24:25], v[16:17]
	v_add_f64 v[16:17], v[26:27], v[18:19]
	v_add_f64 v[28:29], v[22:23], -v[16:17]
	v_add_f64 v[26:27], v[16:17], -v[26:27]
	;; [unrolled: 1-line block ×5, first 2 shown]
	v_add_f64 v[16:17], v[18:19], v[16:17]
	v_add_f64 v[16:17], v[28:29], v[16:17]
	v_mul_f64 v[16:17], v[20:21], v[16:17]
	v_add_f64 v[18:19], v[24:25], v[16:17]
	v_add_f64 v[20:21], v[18:19], -v[24:25]
	v_add_f64 v[16:17], v[16:17], -v[20:21]
	v_mul_f64 v[20:21], v[18:19], v[18:19]
	v_mov_b32_e32 v22, 0x6b47b09a
	v_mov_b32_e32 v23, 0x3fc38538
	v_fmac_f64_e32 v[22:23], s[8:9], v[20:21]
	v_mov_b32_e32 v24, 0xd7f4df2e
	v_mov_b32_e32 v25, 0x3fc7474d
	v_fmac_f64_e32 v[24:25], v[20:21], v[22:23]
	;; [unrolled: 3-line block ×6, first 2 shown]
	v_ldexp_f64 v[22:23], v[18:19], 1
	v_mul_f64 v[18:19], v[18:19], v[20:21]
	v_mul_f64 v[18:19], v[18:19], v[24:25]
	v_add_f64 v[20:21], v[22:23], v[18:19]
	v_add_f64 v[22:23], v[20:21], -v[22:23]
	v_ldexp_f64 v[16:17], v[16:17], 1
	v_add_f64 v[18:19], v[18:19], -v[22:23]
	v_add_f64 v[16:17], v[16:17], v[18:19]
	v_frexp_exp_i32_f64_e32 v15, v[10:11]
	v_add_f64 v[18:19], v[20:21], v[16:17]
	v_subbrev_co_u32_e32 v15, vcc, 0, v15, vcc
	v_add_f64 v[20:21], v[18:19], -v[20:21]
	s_mov_b32 s8, 0xfefa39ef
	v_add_f64 v[16:17], v[16:17], -v[20:21]
	v_cvt_f64_i32_e32 v[20:21], v15
	s_mov_b32 s9, 0x3fe62e42
	v_mul_f64 v[22:23], v[20:21], s[8:9]
	v_fma_f64 v[24:25], v[20:21], s[8:9], -v[22:23]
	s_mov_b32 s8, 0x3b39803f
	s_mov_b32 s9, 0x3c7abc9e
	v_fmac_f64_e32 v[24:25], s[8:9], v[20:21]
	v_add_f64 v[20:21], v[22:23], v[24:25]
	v_add_f64 v[22:23], v[20:21], -v[22:23]
	v_add_f64 v[22:23], v[24:25], -v[22:23]
	v_add_f64 v[24:25], v[20:21], v[18:19]
	v_add_f64 v[26:27], v[24:25], -v[20:21]
	v_add_f64 v[28:29], v[24:25], -v[26:27]
	;; [unrolled: 1-line block ×4, first 2 shown]
	v_add_f64 v[18:19], v[18:19], v[20:21]
	v_add_f64 v[20:21], v[22:23], v[16:17]
	v_add_f64 v[26:27], v[20:21], -v[22:23]
	v_add_f64 v[28:29], v[20:21], -v[26:27]
	v_add_f64 v[18:19], v[20:21], v[18:19]
	v_add_f64 v[22:23], v[22:23], -v[28:29]
	v_add_f64 v[16:17], v[16:17], -v[26:27]
	v_add_f64 v[20:21], v[24:25], v[18:19]
	v_add_f64 v[16:17], v[16:17], v[22:23]
	v_add_f64 v[22:23], v[20:21], -v[24:25]
	v_div_scale_f64 v[24:25], s[8:9], v[10:11], v[10:11], -1.0
	v_rcp_f64_e32 v[26:27], v[24:25]
	v_add_f64 v[18:19], v[18:19], -v[22:23]
	v_add_f64 v[16:17], v[16:17], v[18:19]
	v_add_f64 v[16:17], v[20:21], v[16:17]
	v_fma_f64 v[18:19], -v[24:25], v[26:27], 1.0
	v_fmac_f64_e32 v[26:27], v[26:27], v[18:19]
	v_fma_f64 v[18:19], -v[24:25], v[26:27], 1.0
	v_fmac_f64_e32 v[26:27], v[26:27], v[18:19]
	v_div_scale_f64 v[18:19], vcc, -1.0, v[10:11], -1.0
	v_mul_f64 v[20:21], v[18:19], v[26:27]
	v_fma_f64 v[18:19], -v[24:25], v[20:21], v[18:19]
	s_mov_b32 s8, 0x6dc9c883
	s_nop 0
	v_div_fmas_f64 v[18:19], v[18:19], v[26:27], v[20:21]
	v_div_fixup_f64 v[18:19], v[18:19], v[10:11], -1.0
	v_fmac_f64_e32 v[18:19], v[8:9], v[16:17]
	s_mov_b32 s9, 0x3fe45f30
	v_mul_f64 v[8:9], v[18:19], s[8:9]
	v_fmac_f64_e32 v[8:9], v[10:11], v[12:13]
.LBB1_20:
	s_or_b64 exec, exec, s[6:7]
.LBB1_21:
	s_or_b64 exec, exec, s[4:5]
                                        ; implicit-def: $vgpr10_vgpr11
.LBB1_22:
	s_andn2_saveexec_b64 s[4:5], s[0:1]
	s_cbranch_execz .LBB1_32
; %bb.23:
	s_mov_b32 s0, 0x7f3321d2
	s_mov_b32 s1, 0xc002d97c
	v_add_f64 v[8:9], v[10:11], s[0:1]
	s_mov_b32 s0, 0
	s_mov_b32 s1, 0x41d00000
	v_cmp_nlt_f64_e64 s[6:7], |v[8:9]|, s[0:1]
	v_trig_preop_f64 v[26:27], |v[8:9]|, 0
	v_trig_preop_f64 v[24:25], |v[8:9]|, 1
	;; [unrolled: 1-line block ×3, first 2 shown]
                                        ; implicit-def: $vgpr15
                                        ; implicit-def: $vgpr12_vgpr13
                                        ; implicit-def: $vgpr16_vgpr17
	s_and_saveexec_b64 s[0:1], s[6:7]
	s_xor_b64 s[8:9], exec, s[0:1]
	s_cbranch_execz .LBB1_25
; %bb.24:
	s_mov_b32 s0, 0
	s_mov_b32 s1, 0x7b000000
	s_movk_i32 s10, 0xff80
	v_and_b32_e32 v15, 0x7fffffff, v9
	v_ldexp_f64 v[12:13], |v[8:9]|, s10
	v_cmp_ge_f64_e64 vcc, |v[8:9]|, s[0:1]
	s_mov_b32 s0, 0
	s_mov_b32 s1, 0x7ff00000
	v_cndmask_b32_e32 v13, v15, v13, vcc
	v_cndmask_b32_e32 v12, v8, v12, vcc
	v_mul_f64 v[18:19], v[26:27], v[12:13]
	v_mul_f64 v[16:17], v[24:25], v[12:13]
	v_fma_f64 v[20:21], v[26:27], v[12:13], -v[18:19]
	v_add_f64 v[28:29], v[16:17], v[20:21]
	v_add_f64 v[36:37], v[28:29], -v[16:17]
	v_add_f64 v[20:21], v[20:21], -v[36:37]
	;; [unrolled: 1-line block ×4, first 2 shown]
	v_add_f64 v[20:21], v[20:21], v[36:37]
	v_fma_f64 v[16:17], v[24:25], v[12:13], -v[16:17]
	v_mul_f64 v[36:37], v[22:23], v[12:13]
	v_add_f64 v[38:39], v[36:37], v[16:17]
	v_add_f64 v[30:31], v[18:19], v[28:29]
	;; [unrolled: 1-line block ×3, first 2 shown]
	v_ldexp_f64 v[32:33], v[30:31], -2
	v_add_f64 v[18:19], v[30:31], -v[18:19]
	v_add_f64 v[30:31], v[48:49], -v[38:39]
	;; [unrolled: 1-line block ×5, first 2 shown]
	v_add_f64 v[20:21], v[20:21], v[30:31]
	v_add_f64 v[30:31], v[38:39], -v[36:37]
	v_add_f64 v[16:17], v[16:17], -v[30:31]
	;; [unrolled: 1-line block ×5, first 2 shown]
	v_add_f64 v[16:17], v[16:17], v[30:31]
	v_fract_f64_e32 v[34:35], v[32:33]
	v_add_f64 v[28:29], v[18:19], v[48:49]
	v_add_f64 v[16:17], v[16:17], v[20:21]
	v_fma_f64 v[12:13], v[22:23], v[12:13], -v[36:37]
	v_add_f64 v[18:19], v[28:29], -v[18:19]
	v_add_f64 v[12:13], v[12:13], v[16:17]
	v_ldexp_f64 v[16:17], v[34:35], 2
	v_cmp_neq_f64_e64 vcc, |v[32:33]|, s[0:1]
	v_add_f64 v[18:19], v[48:49], -v[18:19]
	v_add_f64 v[12:13], v[18:19], v[12:13]
	v_cndmask_b32_e32 v17, 0, v17, vcc
	v_cndmask_b32_e32 v16, 0, v16, vcc
	v_add_f64 v[18:19], v[28:29], v[16:17]
	v_mov_b32_e32 v15, 0x40100000
	v_cmp_gt_f64_e32 vcc, 0, v[18:19]
	v_mov_b32_e32 v18, 0
	s_mov_b32 s10, 0x33145c07
	v_cndmask_b32_e32 v19, 0, v15, vcc
	v_add_f64 v[16:17], v[16:17], v[18:19]
	v_add_f64 v[20:21], v[28:29], v[16:17]
	v_cvt_i32_f64_e32 v15, v[20:21]
	v_cvt_f64_i32_e32 v[20:21], v15
	v_add_f64 v[16:17], v[16:17], -v[20:21]
	v_add_f64 v[20:21], v[28:29], v[16:17]
	v_add_f64 v[16:17], v[20:21], -v[16:17]
	v_add_f64 v[16:17], v[28:29], -v[16:17]
	v_add_f64 v[12:13], v[12:13], v[16:17]
	v_cmp_le_f64_e32 vcc, 0.5, v[20:21]
	v_mov_b32_e32 v16, 0x3ff00000
	s_mov_b32 s11, 0x3c91a626
	v_cndmask_b32_e32 v19, 0, v16, vcc
	v_addc_co_u32_e64 v15, s[0:1], 0, v15, vcc
	v_add_f64 v[16:17], v[20:21], -v[18:19]
	v_add_f64 v[18:19], v[16:17], v[12:13]
	s_mov_b32 s0, 0x54442d18
	v_add_f64 v[16:17], v[18:19], -v[16:17]
	s_mov_b32 s1, 0x3ff921fb
	v_add_f64 v[12:13], v[12:13], -v[16:17]
	v_mul_f64 v[16:17], v[18:19], s[0:1]
	v_fma_f64 v[20:21], v[18:19], s[0:1], -v[16:17]
	v_fmac_f64_e32 v[20:21], s[10:11], v[18:19]
	v_fmac_f64_e32 v[20:21], s[0:1], v[12:13]
	v_add_f64 v[12:13], v[16:17], v[20:21]
	v_add_f64 v[16:17], v[12:13], -v[16:17]
	v_add_f64 v[16:17], v[20:21], -v[16:17]
	s_andn2_saveexec_b64 s[0:1], s[8:9]
	s_cbranch_execz .LBB1_27
	s_branch .LBB1_26
.LBB1_25:
	s_andn2_saveexec_b64 s[0:1], s[8:9]
	s_cbranch_execz .LBB1_27
.LBB1_26:
	s_mov_b32 s8, 0x6dc9c883
	s_mov_b32 s9, 0x3fe45f30
	v_mul_f64 v[12:13], |v[8:9]|, s[8:9]
	s_mov_b32 s8, 0x54442d18
	v_rndne_f64_e32 v[18:19], v[12:13]
	s_mov_b32 s9, 0xbff921fb
	v_fma_f64 v[12:13], v[18:19], s[8:9], |v[8:9]|
	s_mov_b32 s9, 0xbc91a626
	s_mov_b32 s8, 0x33145c00
	v_mul_f64 v[20:21], v[18:19], s[8:9]
	v_add_f64 v[30:31], v[12:13], v[20:21]
	v_fma_f64 v[16:17], s[8:9], v[18:19], v[12:13]
	s_mov_b32 s9, 0x3c91a626
	v_add_f64 v[12:13], v[12:13], -v[30:31]
	v_fma_f64 v[28:29], s[8:9], v[18:19], v[20:21]
	v_add_f64 v[12:13], v[12:13], v[20:21]
	v_add_f64 v[20:21], v[30:31], -v[16:17]
	v_add_f64 v[12:13], v[20:21], v[12:13]
	s_mov_b32 s8, 0x252049c0
	v_add_f64 v[20:21], v[12:13], -v[28:29]
	s_mov_b32 s9, 0xb97b839a
	v_fmac_f64_e32 v[20:21], s[8:9], v[18:19]
	v_add_f64 v[12:13], v[16:17], v[20:21]
	v_add_f64 v[16:17], v[12:13], -v[16:17]
	v_add_f64 v[16:17], v[20:21], -v[16:17]
	v_cvt_i32_f64_e32 v15, v[18:19]
.LBB1_27:
	s_or_b64 exec, exec, s[0:1]
                                        ; implicit-def: $vgpr28
                                        ; implicit-def: $vgpr18_vgpr19
                                        ; implicit-def: $vgpr20_vgpr21
	s_and_saveexec_b64 s[0:1], s[6:7]
	s_xor_b64 s[6:7], exec, s[0:1]
	s_cbranch_execz .LBB1_29
; %bb.28:
	s_mov_b32 s0, 0
	s_mov_b32 s1, 0x7b000000
	s_movk_i32 s8, 0xff80
	v_and_b32_e32 v20, 0x7fffffff, v9
	v_ldexp_f64 v[18:19], |v[8:9]|, s8
	v_cmp_ge_f64_e64 vcc, |v[8:9]|, s[0:1]
	s_mov_b32 s0, 0
	s_mov_b32 s1, 0x7ff00000
	v_cndmask_b32_e32 v19, v20, v19, vcc
	v_cndmask_b32_e32 v18, v8, v18, vcc
	v_mul_f64 v[28:29], v[26:27], v[18:19]
	v_mul_f64 v[20:21], v[24:25], v[18:19]
	v_fma_f64 v[26:27], v[26:27], v[18:19], -v[28:29]
	v_add_f64 v[30:31], v[20:21], v[26:27]
	v_add_f64 v[38:39], v[30:31], -v[20:21]
	v_add_f64 v[26:27], v[26:27], -v[38:39]
	;; [unrolled: 1-line block ×4, first 2 shown]
	v_fma_f64 v[20:21], v[24:25], v[18:19], -v[20:21]
	v_mul_f64 v[24:25], v[22:23], v[18:19]
	v_add_f64 v[26:27], v[26:27], v[38:39]
	v_add_f64 v[38:39], v[24:25], v[20:21]
	;; [unrolled: 1-line block ×4, first 2 shown]
	v_ldexp_f64 v[34:35], v[32:33], -2
	v_add_f64 v[28:29], v[32:33], -v[28:29]
	v_add_f64 v[32:33], v[48:49], -v[38:39]
	;; [unrolled: 1-line block ×5, first 2 shown]
	v_add_f64 v[26:27], v[26:27], v[32:33]
	v_add_f64 v[32:33], v[38:39], -v[24:25]
	v_add_f64 v[20:21], v[20:21], -v[32:33]
	;; [unrolled: 1-line block ×4, first 2 shown]
	v_add_f64 v[20:21], v[20:21], v[32:33]
	v_fract_f64_e32 v[36:37], v[34:35]
	v_add_f64 v[20:21], v[20:21], v[26:27]
	v_fma_f64 v[18:19], v[22:23], v[18:19], -v[24:25]
	v_add_f64 v[28:29], v[30:31], -v[28:29]
	v_add_f64 v[18:19], v[18:19], v[20:21]
	v_ldexp_f64 v[20:21], v[36:37], 2
	v_cmp_neq_f64_e64 vcc, |v[34:35]|, s[0:1]
	v_add_f64 v[30:31], v[28:29], v[48:49]
	v_mov_b32_e32 v24, 0x40100000
	v_cndmask_b32_e32 v21, 0, v21, vcc
	v_cndmask_b32_e32 v20, 0, v20, vcc
	v_add_f64 v[22:23], v[30:31], v[20:21]
	v_cmp_gt_f64_e32 vcc, 0, v[22:23]
	v_mov_b32_e32 v22, 0
	v_add_f64 v[28:29], v[30:31], -v[28:29]
	v_cndmask_b32_e32 v23, 0, v24, vcc
	v_add_f64 v[20:21], v[20:21], v[22:23]
	v_add_f64 v[24:25], v[30:31], v[20:21]
	v_cvt_i32_f64_e32 v23, v[24:25]
	v_cvt_f64_i32_e32 v[24:25], v23
	v_add_f64 v[20:21], v[20:21], -v[24:25]
	v_add_f64 v[24:25], v[30:31], v[20:21]
	v_add_f64 v[28:29], v[48:49], -v[28:29]
	v_add_f64 v[20:21], v[24:25], -v[20:21]
	v_add_f64 v[18:19], v[28:29], v[18:19]
	v_add_f64 v[20:21], v[30:31], -v[20:21]
	v_add_f64 v[18:19], v[18:19], v[20:21]
	v_cmp_le_f64_e32 vcc, 0.5, v[24:25]
	v_mov_b32_e32 v20, 0x3ff00000
	s_mov_b32 s8, 0x33145c07
	v_addc_co_u32_e64 v28, s[0:1], 0, v23, vcc
	v_cndmask_b32_e32 v23, 0, v20, vcc
	v_add_f64 v[20:21], v[24:25], -v[22:23]
	v_add_f64 v[22:23], v[20:21], v[18:19]
	s_mov_b32 s0, 0x54442d18
	v_add_f64 v[20:21], v[22:23], -v[20:21]
	s_mov_b32 s1, 0x3ff921fb
	v_add_f64 v[18:19], v[18:19], -v[20:21]
	v_mul_f64 v[20:21], v[22:23], s[0:1]
	v_fma_f64 v[24:25], v[22:23], s[0:1], -v[20:21]
	s_mov_b32 s9, 0x3c91a626
	v_fmac_f64_e32 v[24:25], s[8:9], v[22:23]
	v_fmac_f64_e32 v[24:25], s[0:1], v[18:19]
	v_add_f64 v[18:19], v[20:21], v[24:25]
	v_add_f64 v[20:21], v[18:19], -v[20:21]
	v_add_f64 v[20:21], v[24:25], -v[20:21]
	s_andn2_saveexec_b64 s[0:1], s[6:7]
	s_cbranch_execnz .LBB1_30
	s_branch .LBB1_31
.LBB1_29:
	s_andn2_saveexec_b64 s[0:1], s[6:7]
	s_cbranch_execz .LBB1_31
.LBB1_30:
	s_mov_b32 s6, 0x6dc9c883
	s_mov_b32 s7, 0x3fe45f30
	v_mul_f64 v[18:19], |v[8:9]|, s[6:7]
	s_mov_b32 s6, 0x54442d18
	v_rndne_f64_e32 v[22:23], v[18:19]
	s_mov_b32 s7, 0xbff921fb
	v_fma_f64 v[18:19], v[22:23], s[6:7], |v[8:9]|
	s_mov_b32 s7, 0xbc91a626
	s_mov_b32 s6, 0x33145c00
	v_mul_f64 v[24:25], v[22:23], s[6:7]
	v_add_f64 v[28:29], v[18:19], v[24:25]
	v_fma_f64 v[20:21], s[6:7], v[22:23], v[18:19]
	s_mov_b32 s7, 0x3c91a626
	v_add_f64 v[18:19], v[18:19], -v[28:29]
	v_fma_f64 v[26:27], s[6:7], v[22:23], v[24:25]
	v_add_f64 v[18:19], v[18:19], v[24:25]
	v_add_f64 v[24:25], v[28:29], -v[20:21]
	v_add_f64 v[18:19], v[24:25], v[18:19]
	s_mov_b32 s6, 0x252049c0
	v_add_f64 v[24:25], v[18:19], -v[26:27]
	s_mov_b32 s7, 0xb97b839a
	v_fmac_f64_e32 v[24:25], s[6:7], v[22:23]
	v_add_f64 v[18:19], v[20:21], v[24:25]
	v_add_f64 v[20:21], v[18:19], -v[20:21]
	v_add_f64 v[20:21], v[24:25], -v[20:21]
	v_cvt_i32_f64_e32 v28, v[22:23]
.LBB1_31:
	s_or_b64 exec, exec, s[0:1]
	s_mov_b32 s0, 0
	s_mov_b32 s1, 0x40140000
	v_div_scale_f64 v[22:23], s[6:7], v[10:11], v[10:11], s[0:1]
	v_rcp_f64_e32 v[24:25], v[22:23]
	v_mov_b32_e32 v32, 0x5948aa83
	v_mov_b32_e32 v33, 0x3fb19fdd
	;; [unrolled: 1-line block ×3, first 2 shown]
	v_fma_f64 v[26:27], -v[22:23], v[24:25], 1.0
	v_fmac_f64_e32 v[24:25], v[24:25], v[26:27]
	v_fma_f64 v[26:27], -v[22:23], v[24:25], 1.0
	v_fmac_f64_e32 v[24:25], v[24:25], v[26:27]
	v_div_scale_f64 v[26:27], vcc, s[0:1], v[10:11], s[0:1]
	v_mul_f64 v[30:31], v[26:27], v[24:25]
	v_fma_f64 v[22:23], -v[22:23], v[30:31], v[26:27]
	v_mov_b32_e32 v26, 0x4c6c651b
	s_nop 0
	v_div_fmas_f64 v[22:23], v[22:23], v[24:25], v[30:31]
	v_div_fixup_f64 v[22:23], v[22:23], v[10:11], s[0:1]
	v_mul_f64 v[24:25], v[22:23], v[22:23]
	v_mov_b32_e32 v27, 0x3f48f92c
	v_fmac_f64_e32 v[26:27], 0, v[24:25]
	v_mov_b32_e32 v30, 0xa3fec4b6
	v_mov_b32_e32 v31, 0x3fb2b948
	v_fmac_f64_e32 v[30:31], v[24:25], v[26:27]
	v_mov_b32_e32 v26, 0xc21596d6
	;; [unrolled: 3-line block ×6, first 2 shown]
	v_mov_b32_e32 v27, 0x3f42b89b
	v_fmac_f64_e32 v[26:27], 0, v[24:25]
	v_fmac_f64_e32 v[32:33], v[24:25], v[26:27]
	v_mov_b32_e32 v26, 0xb850eed6
	v_mov_b32_e32 v27, 0x3ff1aea9
	v_fmac_f64_e32 v[26:27], v[24:25], v[32:33]
	v_mov_b32_e32 v32, 0xf7d251a1
	v_mov_b32_e32 v33, 0x40144ba2
	v_fmac_f64_e32 v[32:33], v[24:25], v[26:27]
	v_mov_b32_e32 v26, 0xdda2fd65
	v_mov_b32_e32 v27, 0x4020ccb9
	v_fmac_f64_e32 v[26:27], v[24:25], v[32:33]
	v_mov_b32_e32 v32, 0x4762b4d9
	v_mov_b32_e32 v33, 0x4014d6dd
	v_fmac_f64_e32 v[32:33], v[24:25], v[26:27]
	v_fma_f64 v[26:27], v[24:25], v[32:33], 1.0
	v_mov_b32_e32 v32, 0x6b70ba40
	v_mov_b32_e32 v33, 0x3faa27fa
	v_fmac_f64_e32 v[32:33], 0, v[24:25]
	v_mov_b32_e32 v35, 0x4013edb5
	v_fmac_f64_e32 v[34:35], v[24:25], v[32:33]
	v_mov_b32_e32 v32, 0x9acf1c67
	v_mov_b32_e32 v33, 0x4052f4b9
	v_fmac_f64_e32 v[32:33], v[24:25], v[34:35]
	v_mov_b32_e32 v34, 0x47aa180d
	;; [unrolled: 3-line block ×12, first 2 shown]
	v_mov_b32_e32 v37, 0x40a61462
	v_fma_f64 v[30:31], v[24:25], v[30:31], 1.0
	v_fmac_f64_e32 v[36:37], v[24:25], v[32:33]
	v_div_scale_f64 v[32:33], s[0:1], v[26:27], v[26:27], v[30:31]
	v_rcp_f64_e32 v[38:39], v[32:33]
	v_mov_b32_e32 v48, 0x6ae75997
	v_mov_b32_e32 v49, 0x4075017f
	v_fmac_f64_e32 v[48:49], v[24:25], v[36:37]
	v_fma_f64 v[24:25], -v[32:33], v[38:39], 1.0
	v_fmac_f64_e32 v[38:39], v[38:39], v[24:25]
	v_fma_f64 v[24:25], -v[32:33], v[38:39], 1.0
	v_fmac_f64_e32 v[38:39], v[38:39], v[24:25]
	v_div_scale_f64 v[24:25], vcc, v[30:31], v[26:27], v[30:31]
	v_mul_f64 v[36:37], v[24:25], v[38:39]
	v_fma_f64 v[24:25], -v[32:33], v[36:37], v[24:25]
	s_mov_b32 s0, 0x9037ab78
	s_nop 0
	v_div_fmas_f64 v[24:25], v[24:25], v[38:39], v[36:37]
	s_mov_b32 s1, 0x3e21eeb6
	s_mov_b32 s6, 0x46cc5e42
	v_div_fixup_f64 v[24:25], v[24:25], v[26:27], v[30:31]
	v_mul_f64 v[26:27], v[12:13], v[12:13]
	s_mov_b32 s7, 0xbda907db
	v_mov_b64_e32 v[38:39], s[0:1]
	s_mov_b32 s8, 0xa17f65f6
	v_mul_f64 v[30:31], v[26:27], 0.5
	v_fma_f64 v[50:51], s[6:7], v[26:27], v[38:39]
	s_mov_b32 s9, 0xbe927e4f
	s_mov_b32 s10, 0x19f4ec90
	v_add_f64 v[32:33], -v[30:31], 1.0
	v_fma_f64 v[50:51], v[26:27], v[50:51], s[8:9]
	s_mov_b32 s11, 0x3efa01a0
	s_mov_b32 s12, 0x16c16967
	v_add_f64 v[36:37], -v[32:33], 1.0
	v_fma_f64 v[50:51], v[26:27], v[50:51], s[10:11]
	s_mov_b32 s13, 0xbf56c16c
	s_mov_b32 s14, 0x55555555
	v_add_f64 v[30:31], v[36:37], -v[30:31]
	v_fma_f64 v[50:51], v[26:27], v[50:51], s[12:13]
	s_mov_b32 s15, 0x3fa55555
	v_mul_f64 v[36:37], v[26:27], v[26:27]
	v_fma_f64 v[50:51], v[26:27], v[50:51], s[14:15]
	v_fma_f64 v[30:31], v[12:13], -v[16:17], v[30:31]
	s_mov_b32 s0, 0xb42fdfa7
	v_fmac_f64_e32 v[30:31], v[36:37], v[50:51]
	s_mov_b32 s1, 0xbe5ae600
	s_mov_b32 s16, 0xf9a43bb8
	v_add_f64 v[30:31], v[32:33], v[30:31]
	s_mov_b32 s17, 0x3de5e0b2
	v_mov_b64_e32 v[32:33], s[0:1]
	s_mov_b32 s18, 0x796cde01
	v_fma_f64 v[36:37], s[16:17], v[26:27], v[32:33]
	s_mov_b32 s19, 0x3ec71de3
	s_mov_b32 s20, 0x19e83e5c
	v_fma_f64 v[36:37], v[26:27], v[36:37], s[18:19]
	s_mov_b32 s21, 0xbf2a01a0
	;; [unrolled: 3-line block ×3, first 2 shown]
	v_fma_f64 v[36:37], v[26:27], v[36:37], s[22:23]
	v_mul_f64 v[50:51], v[12:13], -v[26:27]
	v_mul_f64 v[52:53], v[16:17], 0.5
	v_fmac_f64_e32 v[52:53], v[50:51], v[36:37]
	v_fma_f64 v[16:17], v[26:27], v[52:53], -v[16:17]
	s_mov_b32 s25, 0xbfc55555
	s_mov_b32 s24, s14
	v_fmac_f64_e32 v[16:17], s[24:25], v[50:51]
	v_add_f64 v[12:13], v[12:13], -v[16:17]
	v_and_b32_e32 v16, 1, v15
	v_cmp_eq_u32_e32 vcc, 0, v16
	s_brev_b32 s26, 1
	s_movk_i32 s27, 0x1f8
	v_cndmask_b32_e32 v26, v30, v12, vcc
	v_cndmask_b32_e32 v12, v31, v13, vcc
	v_lshlrev_b32_e32 v13, 30, v15
	v_xor_b32_e32 v13, v13, v9
	v_bitop3_b32 v15, v12, v13, s26 bitop3:0x78
	v_div_scale_f64 v[12:13], s[0:1], v[48:49], v[48:49], v[34:35]
	v_rcp_f64_e32 v[16:17], v[12:13]
	v_cmp_class_f64_e64 s[0:1], v[8:9], s27
	v_mov_b32_e32 v29, 0x7ff80000
	s_nop 0
	v_cndmask_b32_e64 v8, 0, v26, s[0:1]
	v_fma_f64 v[26:27], -v[12:13], v[16:17], 1.0
	v_fmac_f64_e32 v[16:17], v[16:17], v[26:27]
	v_fma_f64 v[26:27], -v[12:13], v[16:17], 1.0
	v_fmac_f64_e32 v[16:17], v[16:17], v[26:27]
	v_div_scale_f64 v[26:27], vcc, v[34:35], v[48:49], v[34:35]
	v_mul_f64 v[30:31], v[26:27], v[16:17]
	v_fma_f64 v[12:13], -v[12:13], v[30:31], v[26:27]
	v_cndmask_b32_e64 v9, v29, v15, s[0:1]
	s_nop 0
	v_div_fmas_f64 v[12:13], v[12:13], v[16:17], v[30:31]
	v_div_fixup_f64 v[12:13], v[12:13], v[48:49], v[34:35]
	v_mul_f64 v[16:17], v[18:19], v[18:19]
	v_mul_f64 v[12:13], v[22:23], v[12:13]
	v_mul_f64 v[22:23], v[16:17], 0.5
	v_fmac_f64_e32 v[38:39], s[6:7], v[16:17]
	v_add_f64 v[26:27], -v[22:23], 1.0
	v_fma_f64 v[34:35], v[16:17], v[38:39], s[8:9]
	v_add_f64 v[30:31], -v[26:27], 1.0
	v_fma_f64 v[34:35], v[16:17], v[34:35], s[10:11]
	v_add_f64 v[22:23], v[30:31], -v[22:23]
	v_fma_f64 v[34:35], v[16:17], v[34:35], s[12:13]
	v_mul_f64 v[30:31], v[16:17], v[16:17]
	v_fma_f64 v[34:35], v[16:17], v[34:35], s[14:15]
	v_fma_f64 v[22:23], v[18:19], -v[20:21], v[22:23]
	v_fmac_f64_e32 v[22:23], v[30:31], v[34:35]
	v_fmac_f64_e32 v[32:33], s[16:17], v[16:17]
	v_add_f64 v[22:23], v[26:27], v[22:23]
	v_fma_f64 v[26:27], v[16:17], v[32:33], s[18:19]
	v_fma_f64 v[26:27], v[16:17], v[26:27], s[20:21]
	;; [unrolled: 1-line block ×3, first 2 shown]
	v_mul_f64 v[30:31], v[18:19], -v[16:17]
	v_mul_f64 v[32:33], v[20:21], 0.5
	v_fmac_f64_e32 v[32:33], v[30:31], v[26:27]
	v_fma_f64 v[16:17], v[16:17], v[32:33], -v[20:21]
	v_fmac_f64_e32 v[16:17], s[24:25], v[30:31]
	v_add_f64 v[16:17], v[18:19], -v[16:17]
	v_xor_b32_e32 v15, 0x80000000, v17
	v_and_b32_e32 v17, 1, v28
	v_cmp_eq_u32_e32 vcc, 0, v17
	v_lshlrev_b32_e32 v17, 30, v28
	s_nop 0
	v_cndmask_b32_e32 v15, v15, v23, vcc
	v_cndmask_b32_e32 v16, v16, v22, vcc
	v_bitop3_b32 v15, v15, v17, s26 bitop3:0x78
	v_cndmask_b32_e64 v16, 0, v16, s[0:1]
	v_cndmask_b32_e64 v17, v29, v15, s[0:1]
	s_mov_b32 s0, 0
	v_mul_f64 v[12:13], v[12:13], v[16:17]
	s_brev_b32 s1, 8
	v_fmac_f64_e32 v[12:13], v[24:25], v[8:9]
	v_mov_b32_e32 v8, 0x100
	v_cmp_gt_f64_e32 vcc, s[0:1], v[10:11]
	s_mov_b32 s0, 0x33d43651
	v_mov_b32_e32 v15, 0x260
	v_cndmask_b32_e32 v8, 0, v8, vcc
	v_ldexp_f64 v[8:9], v[10:11], v8
	v_rsq_f64_e32 v[10:11], v[8:9]
	s_mov_b32 s1, 0x3fe98845
	v_mul_f64 v[12:13], v[12:13], s[0:1]
	v_mul_f64 v[16:17], v[8:9], v[10:11]
	v_mul_f64 v[10:11], v[10:11], 0.5
	v_fma_f64 v[18:19], -v[10:11], v[16:17], 0.5
	v_fmac_f64_e32 v[16:17], v[16:17], v[18:19]
	v_fma_f64 v[20:21], -v[16:17], v[16:17], v[8:9]
	v_fmac_f64_e32 v[10:11], v[10:11], v[18:19]
	v_fmac_f64_e32 v[16:17], v[20:21], v[10:11]
	v_fma_f64 v[18:19], -v[16:17], v[16:17], v[8:9]
	v_fmac_f64_e32 v[16:17], v[18:19], v[10:11]
	v_mov_b32_e32 v10, 0xffffff80
	v_cndmask_b32_e32 v10, 0, v10, vcc
	v_ldexp_f64 v[10:11], v[16:17], v10
	v_cmp_class_f64_e32 vcc, v[8:9], v15
	s_nop 1
	v_cndmask_b32_e32 v9, v11, v9, vcc
	v_cndmask_b32_e32 v8, v10, v8, vcc
	v_div_scale_f64 v[10:11], s[0:1], v[8:9], v[8:9], v[12:13]
	v_rcp_f64_e32 v[16:17], v[10:11]
	s_nop 0
	v_fma_f64 v[18:19], -v[10:11], v[16:17], 1.0
	v_fmac_f64_e32 v[16:17], v[16:17], v[18:19]
	v_fma_f64 v[18:19], -v[10:11], v[16:17], 1.0
	v_fmac_f64_e32 v[16:17], v[16:17], v[18:19]
	v_div_scale_f64 v[18:19], vcc, v[12:13], v[8:9], v[12:13]
	v_mul_f64 v[20:21], v[18:19], v[16:17]
	v_fma_f64 v[10:11], -v[10:11], v[20:21], v[18:19]
	s_nop 1
	v_div_fmas_f64 v[10:11], v[10:11], v[16:17], v[20:21]
	v_div_fixup_f64 v[8:9], v[10:11], v[8:9], v[12:13]
.LBB1_32:
	s_or_b64 exec, exec, s[4:5]
	s_mov_b32 s0, 0
	s_mov_b32 s1, 0x40140000
	v_cmp_ge_f64_e32 vcc, s[0:1], v[2:3]
                                        ; implicit-def: $vgpr10_vgpr11
	s_and_saveexec_b64 s[0:1], vcc
	s_xor_b64 s[0:1], exec, s[0:1]
	s_cbranch_execz .LBB1_38
; %bb.33:
	v_mov_b32_e32 v10, 0
	v_cmp_neq_f64_e32 vcc, 0, v[2:3]
	v_mov_b32_e32 v11, 0xfff00000
	s_and_saveexec_b64 s[4:5], vcc
	s_cbranch_execz .LBB1_37
; %bb.34:
	v_mov_b32_e32 v10, 0
	v_cmp_nge_f64_e32 vcc, 0, v[2:3]
	v_mov_b32_e32 v11, 0x7ff80000
	s_and_saveexec_b64 s[6:7], vcc
	s_cbranch_execz .LBB1_36
; %bb.35:
	v_mul_f64 v[10:11], v[2:3], v[2:3]
	v_mov_b32_e32 v12, 0x62f9b6c5
	v_mov_b32_e32 v13, 0x41d2d2be
	v_fmac_f64_e32 v[12:13], 0, v[10:11]
	v_mov_b32_e32 v16, 0x58836521
	v_mov_b32_e32 v17, 0xc262d72d
	v_fmac_f64_e32 v[16:17], v[10:11], v[12:13]
	;; [unrolled: 3-line block ×14, first 2 shown]
	v_div_scale_f64 v[12:13], s[8:9], v[18:19], v[18:19], v[16:17]
	v_rcp_f64_e32 v[20:21], v[12:13]
	v_mov_b32_e32 v26, 0xd438c6b
	v_mov_b32_e32 v27, 0x425a52ba
	;; [unrolled: 1-line block ×3, first 2 shown]
	v_fma_f64 v[22:23], -v[12:13], v[20:21], 1.0
	v_fmac_f64_e32 v[20:21], v[20:21], v[22:23]
	v_fma_f64 v[22:23], -v[12:13], v[20:21], 1.0
	v_fmac_f64_e32 v[20:21], v[20:21], v[22:23]
	v_div_scale_f64 v[22:23], vcc, v[16:17], v[18:19], v[16:17]
	v_mul_f64 v[24:25], v[22:23], v[20:21]
	v_fma_f64 v[12:13], -v[12:13], v[24:25], v[22:23]
	v_mov_b32_e32 v22, 0x4cda4fc5
	v_mov_b32_e32 v23, 0xc1cad23c
	v_fmac_f64_e32 v[22:23], 0, v[10:11]
	v_fmac_f64_e32 v[26:27], v[10:11], v[22:23]
	v_mov_b32_e32 v22, 0xe6ccf175
	v_mov_b32_e32 v23, 0xc2d08a92
	v_fmac_f64_e32 v[22:23], v[10:11], v[26:27]
	v_mov_b32_e32 v26, 0x1b7086e7
	v_mov_b32_e32 v27, 0x408366b1
	v_fmac_f64_e32 v[26:27], 0, v[10:11]
	v_mov_b32_e32 v29, 0x410f5eda
	v_fmac_f64_e32 v[28:29], v[10:11], v[26:27]
	v_mov_b32_e32 v26, 0xdc92a1b1
	v_mov_b32_e32 v27, 0x4193e954
	v_fmac_f64_e32 v[26:27], v[10:11], v[28:29]
	v_mov_b32_e32 v28, 0x7befeac1
	;; [unrolled: 3-line block ×7, first 2 shown]
	v_mov_b32_e32 v27, 0x432a2b42
	v_fmac_f64_e32 v[26:27], v[10:11], v[22:23]
	v_div_scale_f64 v[10:11], s[8:9], v[28:29], v[28:29], v[26:27]
	v_rcp_f64_e32 v[22:23], v[10:11]
	v_div_fmas_f64 v[12:13], v[12:13], v[20:21], v[24:25]
	v_div_fixup_f64 v[12:13], v[12:13], v[18:19], v[16:17]
	s_mov_b32 s8, 0x55555555
	v_fma_f64 v[16:17], -v[10:11], v[22:23], 1.0
	v_fmac_f64_e32 v[22:23], v[22:23], v[16:17]
	v_fma_f64 v[16:17], -v[10:11], v[22:23], 1.0
	v_fmac_f64_e32 v[22:23], v[22:23], v[16:17]
	v_div_scale_f64 v[16:17], vcc, v[26:27], v[28:29], v[26:27]
	v_mul_f64 v[18:19], v[16:17], v[22:23]
	v_fma_f64 v[10:11], -v[10:11], v[18:19], v[16:17]
	v_mov_b32_e32 v16, 0x4189822c
	s_nop 0
	v_div_fmas_f64 v[10:11], v[10:11], v[22:23], v[18:19]
	v_div_fixup_f64 v[10:11], v[10:11], v[28:29], v[26:27]
	v_mov_b32_e32 v17, 0xc02d5d2b
	v_mul_f64 v[10:11], v[2:3], v[10:11]
	v_fmac_f64_e32 v[16:17], v[2:3], v[2:3]
	v_mul_f64 v[10:11], v[16:17], v[10:11]
	v_mov_b32_e32 v16, 0x6072a432
	v_mov_b32_e32 v17, 0xc0489bf6
	v_fmac_f64_e32 v[16:17], v[2:3], v[2:3]
	v_mul_f64 v[10:11], v[16:17], v[10:11]
	v_frexp_mant_f64_e32 v[16:17], v[2:3]
	s_mov_b32 s9, 0x3fe55555
	v_cmp_gt_f64_e32 vcc, s[8:9], v[16:17]
	s_mov_b32 s8, 0xbf559e2b
	s_mov_b32 s9, 0x3fc3ab76
	v_cndmask_b32_e64 v18, 0, 1, vcc
	v_ldexp_f64 v[16:17], v[16:17], v18
	v_add_f64 v[18:19], v[16:17], 1.0
	v_rcp_f64_e32 v[20:21], v[18:19]
	v_add_f64 v[24:25], v[18:19], -1.0
	v_add_f64 v[22:23], v[16:17], -1.0
	v_add_f64 v[16:17], v[16:17], -v[24:25]
	v_fma_f64 v[24:25], -v[18:19], v[20:21], 1.0
	v_fmac_f64_e32 v[20:21], v[24:25], v[20:21]
	v_fma_f64 v[24:25], -v[18:19], v[20:21], 1.0
	v_fmac_f64_e32 v[20:21], v[24:25], v[20:21]
	v_mul_f64 v[24:25], v[22:23], v[20:21]
	v_mul_f64 v[26:27], v[18:19], v[24:25]
	v_fma_f64 v[18:19], v[24:25], v[18:19], -v[26:27]
	v_fmac_f64_e32 v[18:19], v[24:25], v[16:17]
	v_add_f64 v[16:17], v[26:27], v[18:19]
	v_add_f64 v[28:29], v[22:23], -v[16:17]
	v_add_f64 v[26:27], v[16:17], -v[26:27]
	;; [unrolled: 1-line block ×5, first 2 shown]
	v_add_f64 v[16:17], v[18:19], v[16:17]
	v_add_f64 v[16:17], v[28:29], v[16:17]
	v_mul_f64 v[16:17], v[20:21], v[16:17]
	v_add_f64 v[18:19], v[24:25], v[16:17]
	v_add_f64 v[20:21], v[18:19], -v[24:25]
	v_add_f64 v[16:17], v[16:17], -v[20:21]
	v_mul_f64 v[20:21], v[18:19], v[18:19]
	v_mov_b32_e32 v22, 0x6b47b09a
	v_mov_b32_e32 v23, 0x3fc38538
	v_fmac_f64_e32 v[22:23], s[8:9], v[20:21]
	v_mov_b32_e32 v24, 0xd7f4df2e
	v_mov_b32_e32 v25, 0x3fc7474d
	v_fmac_f64_e32 v[24:25], v[20:21], v[22:23]
	;; [unrolled: 3-line block ×6, first 2 shown]
	v_ldexp_f64 v[22:23], v[18:19], 1
	v_mul_f64 v[18:19], v[18:19], v[20:21]
	v_mul_f64 v[18:19], v[18:19], v[24:25]
	v_add_f64 v[20:21], v[22:23], v[18:19]
	v_add_f64 v[22:23], v[20:21], -v[22:23]
	v_ldexp_f64 v[16:17], v[16:17], 1
	v_add_f64 v[18:19], v[18:19], -v[22:23]
	v_add_f64 v[16:17], v[16:17], v[18:19]
	v_frexp_exp_i32_f64_e32 v15, v[2:3]
	v_add_f64 v[18:19], v[20:21], v[16:17]
	v_subbrev_co_u32_e32 v15, vcc, 0, v15, vcc
	v_add_f64 v[20:21], v[18:19], -v[20:21]
	s_mov_b32 s8, 0xfefa39ef
	v_add_f64 v[16:17], v[16:17], -v[20:21]
	v_cvt_f64_i32_e32 v[20:21], v15
	s_mov_b32 s9, 0x3fe62e42
	v_mul_f64 v[22:23], v[20:21], s[8:9]
	v_fma_f64 v[24:25], v[20:21], s[8:9], -v[22:23]
	s_mov_b32 s8, 0x3b39803f
	s_mov_b32 s9, 0x3c7abc9e
	v_fmac_f64_e32 v[24:25], s[8:9], v[20:21]
	v_add_f64 v[20:21], v[22:23], v[24:25]
	v_add_f64 v[22:23], v[20:21], -v[22:23]
	v_add_f64 v[22:23], v[24:25], -v[22:23]
	v_add_f64 v[24:25], v[20:21], v[18:19]
	v_add_f64 v[26:27], v[24:25], -v[20:21]
	v_add_f64 v[28:29], v[24:25], -v[26:27]
	;; [unrolled: 1-line block ×4, first 2 shown]
	v_add_f64 v[18:19], v[18:19], v[20:21]
	v_add_f64 v[20:21], v[22:23], v[16:17]
	v_add_f64 v[26:27], v[20:21], -v[22:23]
	v_add_f64 v[28:29], v[20:21], -v[26:27]
	v_add_f64 v[18:19], v[20:21], v[18:19]
	v_add_f64 v[22:23], v[22:23], -v[28:29]
	v_add_f64 v[16:17], v[16:17], -v[26:27]
	v_add_f64 v[20:21], v[24:25], v[18:19]
	v_add_f64 v[16:17], v[16:17], v[22:23]
	v_add_f64 v[22:23], v[20:21], -v[24:25]
	v_div_scale_f64 v[24:25], s[8:9], v[2:3], v[2:3], -1.0
	v_rcp_f64_e32 v[26:27], v[24:25]
	v_add_f64 v[18:19], v[18:19], -v[22:23]
	v_add_f64 v[16:17], v[16:17], v[18:19]
	v_add_f64 v[16:17], v[20:21], v[16:17]
	v_fma_f64 v[18:19], -v[24:25], v[26:27], 1.0
	v_fmac_f64_e32 v[26:27], v[26:27], v[18:19]
	v_fma_f64 v[18:19], -v[24:25], v[26:27], 1.0
	v_fmac_f64_e32 v[26:27], v[26:27], v[18:19]
	v_div_scale_f64 v[18:19], vcc, -1.0, v[2:3], -1.0
	v_mul_f64 v[20:21], v[18:19], v[26:27]
	v_fma_f64 v[18:19], -v[24:25], v[20:21], v[18:19]
	s_mov_b32 s8, 0x6dc9c883
	s_nop 0
	v_div_fmas_f64 v[18:19], v[18:19], v[26:27], v[20:21]
	v_div_fixup_f64 v[18:19], v[18:19], v[2:3], -1.0
	v_fmac_f64_e32 v[18:19], v[10:11], v[16:17]
	s_mov_b32 s9, 0x3fe45f30
	v_mul_f64 v[10:11], v[18:19], s[8:9]
	v_fmac_f64_e32 v[10:11], v[2:3], v[12:13]
.LBB1_36:
	s_or_b64 exec, exec, s[6:7]
.LBB1_37:
	s_or_b64 exec, exec, s[4:5]
.LBB1_38:
	s_andn2_saveexec_b64 s[4:5], s[0:1]
	s_cbranch_execz .LBB1_48
; %bb.39:
	s_mov_b32 s0, 0x7f3321d2
	s_mov_b32 s1, 0xc002d97c
	v_add_f64 v[10:11], v[2:3], s[0:1]
	s_mov_b32 s0, 0
	s_mov_b32 s1, 0x41d00000
	v_cmp_nlt_f64_e64 s[6:7], |v[10:11]|, s[0:1]
	v_trig_preop_f64 v[26:27], |v[10:11]|, 0
	v_trig_preop_f64 v[24:25], |v[10:11]|, 1
	;; [unrolled: 1-line block ×3, first 2 shown]
                                        ; implicit-def: $vgpr15
                                        ; implicit-def: $vgpr12_vgpr13
                                        ; implicit-def: $vgpr16_vgpr17
	s_and_saveexec_b64 s[0:1], s[6:7]
	s_xor_b64 s[8:9], exec, s[0:1]
	s_cbranch_execz .LBB1_41
; %bb.40:
	s_mov_b32 s0, 0
	s_mov_b32 s1, 0x7b000000
	s_movk_i32 s10, 0xff80
	v_and_b32_e32 v15, 0x7fffffff, v11
	v_ldexp_f64 v[12:13], |v[10:11]|, s10
	v_cmp_ge_f64_e64 vcc, |v[10:11]|, s[0:1]
	s_mov_b32 s0, 0
	s_mov_b32 s1, 0x7ff00000
	v_cndmask_b32_e32 v13, v15, v13, vcc
	v_cndmask_b32_e32 v12, v10, v12, vcc
	v_mul_f64 v[18:19], v[26:27], v[12:13]
	v_mul_f64 v[16:17], v[24:25], v[12:13]
	v_fma_f64 v[20:21], v[26:27], v[12:13], -v[18:19]
	v_add_f64 v[28:29], v[16:17], v[20:21]
	v_add_f64 v[36:37], v[28:29], -v[16:17]
	v_add_f64 v[20:21], v[20:21], -v[36:37]
	;; [unrolled: 1-line block ×4, first 2 shown]
	v_add_f64 v[20:21], v[20:21], v[36:37]
	v_fma_f64 v[16:17], v[24:25], v[12:13], -v[16:17]
	v_mul_f64 v[36:37], v[22:23], v[12:13]
	v_add_f64 v[38:39], v[36:37], v[16:17]
	v_add_f64 v[30:31], v[18:19], v[28:29]
	;; [unrolled: 1-line block ×3, first 2 shown]
	v_ldexp_f64 v[32:33], v[30:31], -2
	v_add_f64 v[18:19], v[30:31], -v[18:19]
	v_add_f64 v[30:31], v[48:49], -v[38:39]
	;; [unrolled: 1-line block ×5, first 2 shown]
	v_add_f64 v[20:21], v[20:21], v[30:31]
	v_add_f64 v[30:31], v[38:39], -v[36:37]
	v_add_f64 v[16:17], v[16:17], -v[30:31]
	v_add_f64 v[30:31], v[38:39], -v[30:31]
	v_add_f64 v[30:31], v[36:37], -v[30:31]
	v_add_f64 v[18:19], v[28:29], -v[18:19]
	v_add_f64 v[16:17], v[16:17], v[30:31]
	v_fract_f64_e32 v[34:35], v[32:33]
	v_add_f64 v[28:29], v[18:19], v[48:49]
	v_add_f64 v[16:17], v[16:17], v[20:21]
	v_fma_f64 v[12:13], v[22:23], v[12:13], -v[36:37]
	v_add_f64 v[18:19], v[28:29], -v[18:19]
	v_add_f64 v[12:13], v[12:13], v[16:17]
	v_ldexp_f64 v[16:17], v[34:35], 2
	v_cmp_neq_f64_e64 vcc, |v[32:33]|, s[0:1]
	v_add_f64 v[18:19], v[48:49], -v[18:19]
	v_add_f64 v[12:13], v[18:19], v[12:13]
	v_cndmask_b32_e32 v17, 0, v17, vcc
	v_cndmask_b32_e32 v16, 0, v16, vcc
	v_add_f64 v[18:19], v[28:29], v[16:17]
	v_mov_b32_e32 v15, 0x40100000
	v_cmp_gt_f64_e32 vcc, 0, v[18:19]
	v_mov_b32_e32 v18, 0
	s_mov_b32 s10, 0x33145c07
	v_cndmask_b32_e32 v19, 0, v15, vcc
	v_add_f64 v[16:17], v[16:17], v[18:19]
	v_add_f64 v[20:21], v[28:29], v[16:17]
	v_cvt_i32_f64_e32 v15, v[20:21]
	v_cvt_f64_i32_e32 v[20:21], v15
	v_add_f64 v[16:17], v[16:17], -v[20:21]
	v_add_f64 v[20:21], v[28:29], v[16:17]
	v_add_f64 v[16:17], v[20:21], -v[16:17]
	v_add_f64 v[16:17], v[28:29], -v[16:17]
	v_add_f64 v[12:13], v[12:13], v[16:17]
	v_cmp_le_f64_e32 vcc, 0.5, v[20:21]
	v_mov_b32_e32 v16, 0x3ff00000
	s_mov_b32 s11, 0x3c91a626
	v_cndmask_b32_e32 v19, 0, v16, vcc
	v_addc_co_u32_e64 v15, s[0:1], 0, v15, vcc
	v_add_f64 v[16:17], v[20:21], -v[18:19]
	v_add_f64 v[18:19], v[16:17], v[12:13]
	s_mov_b32 s0, 0x54442d18
	v_add_f64 v[16:17], v[18:19], -v[16:17]
	s_mov_b32 s1, 0x3ff921fb
	v_add_f64 v[12:13], v[12:13], -v[16:17]
	v_mul_f64 v[16:17], v[18:19], s[0:1]
	v_fma_f64 v[20:21], v[18:19], s[0:1], -v[16:17]
	v_fmac_f64_e32 v[20:21], s[10:11], v[18:19]
	v_fmac_f64_e32 v[20:21], s[0:1], v[12:13]
	v_add_f64 v[12:13], v[16:17], v[20:21]
	v_add_f64 v[16:17], v[12:13], -v[16:17]
	v_add_f64 v[16:17], v[20:21], -v[16:17]
	s_andn2_saveexec_b64 s[0:1], s[8:9]
	s_cbranch_execz .LBB1_43
	s_branch .LBB1_42
.LBB1_41:
	s_andn2_saveexec_b64 s[0:1], s[8:9]
	s_cbranch_execz .LBB1_43
.LBB1_42:
	s_mov_b32 s8, 0x6dc9c883
	s_mov_b32 s9, 0x3fe45f30
	v_mul_f64 v[12:13], |v[10:11]|, s[8:9]
	s_mov_b32 s8, 0x54442d18
	v_rndne_f64_e32 v[18:19], v[12:13]
	s_mov_b32 s9, 0xbff921fb
	v_fma_f64 v[12:13], v[18:19], s[8:9], |v[10:11]|
	s_mov_b32 s9, 0xbc91a626
	s_mov_b32 s8, 0x33145c00
	v_mul_f64 v[20:21], v[18:19], s[8:9]
	v_add_f64 v[30:31], v[12:13], v[20:21]
	v_fma_f64 v[16:17], s[8:9], v[18:19], v[12:13]
	s_mov_b32 s9, 0x3c91a626
	v_add_f64 v[12:13], v[12:13], -v[30:31]
	v_fma_f64 v[28:29], s[8:9], v[18:19], v[20:21]
	v_add_f64 v[12:13], v[12:13], v[20:21]
	v_add_f64 v[20:21], v[30:31], -v[16:17]
	v_add_f64 v[12:13], v[20:21], v[12:13]
	s_mov_b32 s8, 0x252049c0
	v_add_f64 v[20:21], v[12:13], -v[28:29]
	s_mov_b32 s9, 0xb97b839a
	v_fmac_f64_e32 v[20:21], s[8:9], v[18:19]
	v_add_f64 v[12:13], v[16:17], v[20:21]
	v_add_f64 v[16:17], v[12:13], -v[16:17]
	v_add_f64 v[16:17], v[20:21], -v[16:17]
	v_cvt_i32_f64_e32 v15, v[18:19]
.LBB1_43:
	s_or_b64 exec, exec, s[0:1]
                                        ; implicit-def: $vgpr28
                                        ; implicit-def: $vgpr18_vgpr19
                                        ; implicit-def: $vgpr20_vgpr21
	s_and_saveexec_b64 s[0:1], s[6:7]
	s_xor_b64 s[6:7], exec, s[0:1]
	s_cbranch_execz .LBB1_45
; %bb.44:
	s_mov_b32 s0, 0
	s_mov_b32 s1, 0x7b000000
	s_movk_i32 s8, 0xff80
	v_and_b32_e32 v20, 0x7fffffff, v11
	v_ldexp_f64 v[18:19], |v[10:11]|, s8
	v_cmp_ge_f64_e64 vcc, |v[10:11]|, s[0:1]
	s_mov_b32 s0, 0
	s_mov_b32 s1, 0x7ff00000
	v_cndmask_b32_e32 v19, v20, v19, vcc
	v_cndmask_b32_e32 v18, v10, v18, vcc
	v_mul_f64 v[28:29], v[26:27], v[18:19]
	v_mul_f64 v[20:21], v[24:25], v[18:19]
	v_fma_f64 v[26:27], v[26:27], v[18:19], -v[28:29]
	v_add_f64 v[30:31], v[20:21], v[26:27]
	v_add_f64 v[38:39], v[30:31], -v[20:21]
	v_add_f64 v[26:27], v[26:27], -v[38:39]
	;; [unrolled: 1-line block ×4, first 2 shown]
	v_fma_f64 v[20:21], v[24:25], v[18:19], -v[20:21]
	v_mul_f64 v[24:25], v[22:23], v[18:19]
	v_add_f64 v[26:27], v[26:27], v[38:39]
	v_add_f64 v[38:39], v[24:25], v[20:21]
	;; [unrolled: 1-line block ×4, first 2 shown]
	v_ldexp_f64 v[34:35], v[32:33], -2
	v_add_f64 v[28:29], v[32:33], -v[28:29]
	v_add_f64 v[32:33], v[48:49], -v[38:39]
	;; [unrolled: 1-line block ×5, first 2 shown]
	v_add_f64 v[26:27], v[26:27], v[32:33]
	v_add_f64 v[32:33], v[38:39], -v[24:25]
	v_add_f64 v[20:21], v[20:21], -v[32:33]
	;; [unrolled: 1-line block ×4, first 2 shown]
	v_add_f64 v[20:21], v[20:21], v[32:33]
	v_fract_f64_e32 v[36:37], v[34:35]
	v_add_f64 v[20:21], v[20:21], v[26:27]
	v_fma_f64 v[18:19], v[22:23], v[18:19], -v[24:25]
	v_add_f64 v[28:29], v[30:31], -v[28:29]
	v_add_f64 v[18:19], v[18:19], v[20:21]
	v_ldexp_f64 v[20:21], v[36:37], 2
	v_cmp_neq_f64_e64 vcc, |v[34:35]|, s[0:1]
	v_add_f64 v[30:31], v[28:29], v[48:49]
	v_mov_b32_e32 v24, 0x40100000
	v_cndmask_b32_e32 v21, 0, v21, vcc
	v_cndmask_b32_e32 v20, 0, v20, vcc
	v_add_f64 v[22:23], v[30:31], v[20:21]
	v_cmp_gt_f64_e32 vcc, 0, v[22:23]
	v_mov_b32_e32 v22, 0
	v_add_f64 v[28:29], v[30:31], -v[28:29]
	v_cndmask_b32_e32 v23, 0, v24, vcc
	v_add_f64 v[20:21], v[20:21], v[22:23]
	v_add_f64 v[24:25], v[30:31], v[20:21]
	v_cvt_i32_f64_e32 v23, v[24:25]
	v_cvt_f64_i32_e32 v[24:25], v23
	v_add_f64 v[20:21], v[20:21], -v[24:25]
	v_add_f64 v[24:25], v[30:31], v[20:21]
	v_add_f64 v[28:29], v[48:49], -v[28:29]
	v_add_f64 v[20:21], v[24:25], -v[20:21]
	v_add_f64 v[18:19], v[28:29], v[18:19]
	v_add_f64 v[20:21], v[30:31], -v[20:21]
	v_add_f64 v[18:19], v[18:19], v[20:21]
	v_cmp_le_f64_e32 vcc, 0.5, v[24:25]
	v_mov_b32_e32 v20, 0x3ff00000
	s_mov_b32 s8, 0x33145c07
	v_addc_co_u32_e64 v28, s[0:1], 0, v23, vcc
	v_cndmask_b32_e32 v23, 0, v20, vcc
	v_add_f64 v[20:21], v[24:25], -v[22:23]
	v_add_f64 v[22:23], v[20:21], v[18:19]
	s_mov_b32 s0, 0x54442d18
	v_add_f64 v[20:21], v[22:23], -v[20:21]
	s_mov_b32 s1, 0x3ff921fb
	v_add_f64 v[18:19], v[18:19], -v[20:21]
	v_mul_f64 v[20:21], v[22:23], s[0:1]
	v_fma_f64 v[24:25], v[22:23], s[0:1], -v[20:21]
	s_mov_b32 s9, 0x3c91a626
	v_fmac_f64_e32 v[24:25], s[8:9], v[22:23]
	v_fmac_f64_e32 v[24:25], s[0:1], v[18:19]
	v_add_f64 v[18:19], v[20:21], v[24:25]
	v_add_f64 v[20:21], v[18:19], -v[20:21]
	v_add_f64 v[20:21], v[24:25], -v[20:21]
	s_andn2_saveexec_b64 s[0:1], s[6:7]
	s_cbranch_execnz .LBB1_46
	s_branch .LBB1_47
.LBB1_45:
	s_andn2_saveexec_b64 s[0:1], s[6:7]
	s_cbranch_execz .LBB1_47
.LBB1_46:
	s_mov_b32 s6, 0x6dc9c883
	s_mov_b32 s7, 0x3fe45f30
	v_mul_f64 v[18:19], |v[10:11]|, s[6:7]
	s_mov_b32 s6, 0x54442d18
	v_rndne_f64_e32 v[22:23], v[18:19]
	s_mov_b32 s7, 0xbff921fb
	v_fma_f64 v[18:19], v[22:23], s[6:7], |v[10:11]|
	s_mov_b32 s7, 0xbc91a626
	s_mov_b32 s6, 0x33145c00
	v_mul_f64 v[24:25], v[22:23], s[6:7]
	v_add_f64 v[28:29], v[18:19], v[24:25]
	v_fma_f64 v[20:21], s[6:7], v[22:23], v[18:19]
	s_mov_b32 s7, 0x3c91a626
	v_add_f64 v[18:19], v[18:19], -v[28:29]
	v_fma_f64 v[26:27], s[6:7], v[22:23], v[24:25]
	v_add_f64 v[18:19], v[18:19], v[24:25]
	v_add_f64 v[24:25], v[28:29], -v[20:21]
	v_add_f64 v[18:19], v[24:25], v[18:19]
	s_mov_b32 s6, 0x252049c0
	v_add_f64 v[24:25], v[18:19], -v[26:27]
	s_mov_b32 s7, 0xb97b839a
	v_fmac_f64_e32 v[24:25], s[6:7], v[22:23]
	v_add_f64 v[18:19], v[20:21], v[24:25]
	v_add_f64 v[20:21], v[18:19], -v[20:21]
	v_add_f64 v[20:21], v[24:25], -v[20:21]
	v_cvt_i32_f64_e32 v28, v[22:23]
.LBB1_47:
	s_or_b64 exec, exec, s[0:1]
	s_mov_b32 s0, 0
	s_mov_b32 s1, 0x40140000
	v_div_scale_f64 v[22:23], s[6:7], v[2:3], v[2:3], s[0:1]
	v_rcp_f64_e32 v[24:25], v[22:23]
	v_mov_b32_e32 v32, 0x5948aa83
	v_mov_b32_e32 v33, 0x3fb19fdd
	;; [unrolled: 1-line block ×3, first 2 shown]
	v_fma_f64 v[26:27], -v[22:23], v[24:25], 1.0
	v_fmac_f64_e32 v[24:25], v[24:25], v[26:27]
	v_fma_f64 v[26:27], -v[22:23], v[24:25], 1.0
	v_fmac_f64_e32 v[24:25], v[24:25], v[26:27]
	v_div_scale_f64 v[26:27], vcc, s[0:1], v[2:3], s[0:1]
	v_mul_f64 v[30:31], v[26:27], v[24:25]
	v_fma_f64 v[22:23], -v[22:23], v[30:31], v[26:27]
	v_mov_b32_e32 v26, 0x4c6c651b
	s_nop 0
	v_div_fmas_f64 v[22:23], v[22:23], v[24:25], v[30:31]
	v_div_fixup_f64 v[22:23], v[22:23], v[2:3], s[0:1]
	v_mul_f64 v[24:25], v[22:23], v[22:23]
	v_mov_b32_e32 v27, 0x3f48f92c
	v_fmac_f64_e32 v[26:27], 0, v[24:25]
	v_mov_b32_e32 v30, 0xa3fec4b6
	v_mov_b32_e32 v31, 0x3fb2b948
	v_fmac_f64_e32 v[30:31], v[24:25], v[26:27]
	v_mov_b32_e32 v26, 0xc21596d6
	;; [unrolled: 3-line block ×6, first 2 shown]
	v_mov_b32_e32 v27, 0x3f42b89b
	v_fmac_f64_e32 v[26:27], 0, v[24:25]
	v_fmac_f64_e32 v[32:33], v[24:25], v[26:27]
	v_mov_b32_e32 v26, 0xb850eed6
	v_mov_b32_e32 v27, 0x3ff1aea9
	v_fmac_f64_e32 v[26:27], v[24:25], v[32:33]
	v_mov_b32_e32 v32, 0xf7d251a1
	v_mov_b32_e32 v33, 0x40144ba2
	;; [unrolled: 3-line block ×4, first 2 shown]
	v_fmac_f64_e32 v[32:33], v[24:25], v[26:27]
	v_fma_f64 v[26:27], v[24:25], v[32:33], 1.0
	v_mov_b32_e32 v32, 0x6b70ba40
	v_mov_b32_e32 v33, 0x3faa27fa
	v_fmac_f64_e32 v[32:33], 0, v[24:25]
	v_mov_b32_e32 v35, 0x4013edb5
	v_fmac_f64_e32 v[34:35], v[24:25], v[32:33]
	v_mov_b32_e32 v32, 0x9acf1c67
	v_mov_b32_e32 v33, 0x4052f4b9
	v_fmac_f64_e32 v[32:33], v[24:25], v[34:35]
	v_mov_b32_e32 v34, 0x47aa180d
	;; [unrolled: 3-line block ×12, first 2 shown]
	v_mov_b32_e32 v37, 0x40a61462
	v_fma_f64 v[30:31], v[24:25], v[30:31], 1.0
	v_fmac_f64_e32 v[36:37], v[24:25], v[32:33]
	v_div_scale_f64 v[32:33], s[0:1], v[26:27], v[26:27], v[30:31]
	v_rcp_f64_e32 v[38:39], v[32:33]
	v_mov_b32_e32 v48, 0x6ae75997
	v_mov_b32_e32 v49, 0x4075017f
	v_fmac_f64_e32 v[48:49], v[24:25], v[36:37]
	v_fma_f64 v[24:25], -v[32:33], v[38:39], 1.0
	v_fmac_f64_e32 v[38:39], v[38:39], v[24:25]
	v_fma_f64 v[24:25], -v[32:33], v[38:39], 1.0
	v_fmac_f64_e32 v[38:39], v[38:39], v[24:25]
	v_div_scale_f64 v[24:25], vcc, v[30:31], v[26:27], v[30:31]
	v_mul_f64 v[36:37], v[24:25], v[38:39]
	v_fma_f64 v[24:25], -v[32:33], v[36:37], v[24:25]
	s_mov_b32 s0, 0x9037ab78
	s_nop 0
	v_div_fmas_f64 v[24:25], v[24:25], v[38:39], v[36:37]
	s_mov_b32 s1, 0x3e21eeb6
	s_mov_b32 s6, 0x46cc5e42
	v_div_fixup_f64 v[24:25], v[24:25], v[26:27], v[30:31]
	v_mul_f64 v[26:27], v[12:13], v[12:13]
	s_mov_b32 s7, 0xbda907db
	v_mov_b64_e32 v[38:39], s[0:1]
	s_mov_b32 s8, 0xa17f65f6
	v_mul_f64 v[30:31], v[26:27], 0.5
	v_fma_f64 v[50:51], s[6:7], v[26:27], v[38:39]
	s_mov_b32 s9, 0xbe927e4f
	s_mov_b32 s10, 0x19f4ec90
	v_add_f64 v[32:33], -v[30:31], 1.0
	v_fma_f64 v[50:51], v[26:27], v[50:51], s[8:9]
	s_mov_b32 s11, 0x3efa01a0
	s_mov_b32 s12, 0x16c16967
	v_add_f64 v[36:37], -v[32:33], 1.0
	v_fma_f64 v[50:51], v[26:27], v[50:51], s[10:11]
	s_mov_b32 s13, 0xbf56c16c
	s_mov_b32 s14, 0x55555555
	v_add_f64 v[30:31], v[36:37], -v[30:31]
	v_fma_f64 v[50:51], v[26:27], v[50:51], s[12:13]
	s_mov_b32 s15, 0x3fa55555
	v_mul_f64 v[36:37], v[26:27], v[26:27]
	v_fma_f64 v[50:51], v[26:27], v[50:51], s[14:15]
	v_fma_f64 v[30:31], v[12:13], -v[16:17], v[30:31]
	s_mov_b32 s0, 0xb42fdfa7
	v_fmac_f64_e32 v[30:31], v[36:37], v[50:51]
	s_mov_b32 s1, 0xbe5ae600
	s_mov_b32 s16, 0xf9a43bb8
	v_add_f64 v[30:31], v[32:33], v[30:31]
	s_mov_b32 s17, 0x3de5e0b2
	v_mov_b64_e32 v[32:33], s[0:1]
	s_mov_b32 s18, 0x796cde01
	v_fma_f64 v[36:37], s[16:17], v[26:27], v[32:33]
	s_mov_b32 s19, 0x3ec71de3
	s_mov_b32 s20, 0x19e83e5c
	v_fma_f64 v[36:37], v[26:27], v[36:37], s[18:19]
	s_mov_b32 s21, 0xbf2a01a0
	;; [unrolled: 3-line block ×3, first 2 shown]
	v_fma_f64 v[36:37], v[26:27], v[36:37], s[22:23]
	v_mul_f64 v[50:51], v[12:13], -v[26:27]
	v_mul_f64 v[52:53], v[16:17], 0.5
	v_fmac_f64_e32 v[52:53], v[50:51], v[36:37]
	v_fma_f64 v[16:17], v[26:27], v[52:53], -v[16:17]
	s_mov_b32 s25, 0xbfc55555
	s_mov_b32 s24, s14
	v_fmac_f64_e32 v[16:17], s[24:25], v[50:51]
	v_add_f64 v[12:13], v[12:13], -v[16:17]
	v_and_b32_e32 v16, 1, v15
	v_cmp_eq_u32_e32 vcc, 0, v16
	s_brev_b32 s26, 1
	s_movk_i32 s27, 0x1f8
	v_cndmask_b32_e32 v26, v30, v12, vcc
	v_cndmask_b32_e32 v12, v31, v13, vcc
	v_lshlrev_b32_e32 v13, 30, v15
	v_xor_b32_e32 v13, v13, v11
	v_bitop3_b32 v15, v12, v13, s26 bitop3:0x78
	v_div_scale_f64 v[12:13], s[0:1], v[48:49], v[48:49], v[34:35]
	v_rcp_f64_e32 v[16:17], v[12:13]
	v_cmp_class_f64_e64 s[0:1], v[10:11], s27
	v_mov_b32_e32 v29, 0x7ff80000
	s_nop 0
	v_cndmask_b32_e64 v10, 0, v26, s[0:1]
	v_fma_f64 v[26:27], -v[12:13], v[16:17], 1.0
	v_fmac_f64_e32 v[16:17], v[16:17], v[26:27]
	v_fma_f64 v[26:27], -v[12:13], v[16:17], 1.0
	v_fmac_f64_e32 v[16:17], v[16:17], v[26:27]
	v_div_scale_f64 v[26:27], vcc, v[34:35], v[48:49], v[34:35]
	v_mul_f64 v[30:31], v[26:27], v[16:17]
	v_fma_f64 v[12:13], -v[12:13], v[30:31], v[26:27]
	v_cndmask_b32_e64 v11, v29, v15, s[0:1]
	s_nop 0
	v_div_fmas_f64 v[12:13], v[12:13], v[16:17], v[30:31]
	v_div_fixup_f64 v[12:13], v[12:13], v[48:49], v[34:35]
	v_mul_f64 v[16:17], v[18:19], v[18:19]
	v_mul_f64 v[12:13], v[22:23], v[12:13]
	v_mul_f64 v[22:23], v[16:17], 0.5
	v_fmac_f64_e32 v[38:39], s[6:7], v[16:17]
	v_add_f64 v[26:27], -v[22:23], 1.0
	v_fma_f64 v[34:35], v[16:17], v[38:39], s[8:9]
	v_add_f64 v[30:31], -v[26:27], 1.0
	v_fma_f64 v[34:35], v[16:17], v[34:35], s[10:11]
	v_add_f64 v[22:23], v[30:31], -v[22:23]
	v_fma_f64 v[34:35], v[16:17], v[34:35], s[12:13]
	v_mul_f64 v[30:31], v[16:17], v[16:17]
	v_fma_f64 v[34:35], v[16:17], v[34:35], s[14:15]
	v_fma_f64 v[22:23], v[18:19], -v[20:21], v[22:23]
	v_fmac_f64_e32 v[22:23], v[30:31], v[34:35]
	v_fmac_f64_e32 v[32:33], s[16:17], v[16:17]
	v_add_f64 v[22:23], v[26:27], v[22:23]
	v_fma_f64 v[26:27], v[16:17], v[32:33], s[18:19]
	v_fma_f64 v[26:27], v[16:17], v[26:27], s[20:21]
	;; [unrolled: 1-line block ×3, first 2 shown]
	v_mul_f64 v[30:31], v[18:19], -v[16:17]
	v_mul_f64 v[32:33], v[20:21], 0.5
	v_fmac_f64_e32 v[32:33], v[30:31], v[26:27]
	v_fma_f64 v[16:17], v[16:17], v[32:33], -v[20:21]
	v_fmac_f64_e32 v[16:17], s[24:25], v[30:31]
	v_add_f64 v[16:17], v[18:19], -v[16:17]
	v_xor_b32_e32 v15, 0x80000000, v17
	v_and_b32_e32 v17, 1, v28
	v_cmp_eq_u32_e32 vcc, 0, v17
	v_lshlrev_b32_e32 v17, 30, v28
	s_nop 0
	v_cndmask_b32_e32 v15, v15, v23, vcc
	v_cndmask_b32_e32 v16, v16, v22, vcc
	v_bitop3_b32 v15, v15, v17, s26 bitop3:0x78
	v_cndmask_b32_e64 v16, 0, v16, s[0:1]
	v_cndmask_b32_e64 v17, v29, v15, s[0:1]
	s_mov_b32 s0, 0
	v_mul_f64 v[12:13], v[12:13], v[16:17]
	s_brev_b32 s1, 8
	v_fmac_f64_e32 v[12:13], v[24:25], v[10:11]
	v_mov_b32_e32 v10, 0x100
	v_cmp_gt_f64_e32 vcc, s[0:1], v[2:3]
	s_mov_b32 s0, 0x33d43651
	v_mov_b32_e32 v15, 0x260
	v_cndmask_b32_e32 v10, 0, v10, vcc
	v_ldexp_f64 v[2:3], v[2:3], v10
	v_rsq_f64_e32 v[10:11], v[2:3]
	s_mov_b32 s1, 0x3fe98845
	v_mul_f64 v[12:13], v[12:13], s[0:1]
	v_mul_f64 v[16:17], v[2:3], v[10:11]
	v_mul_f64 v[10:11], v[10:11], 0.5
	v_fma_f64 v[18:19], -v[10:11], v[16:17], 0.5
	v_fmac_f64_e32 v[16:17], v[16:17], v[18:19]
	v_fma_f64 v[20:21], -v[16:17], v[16:17], v[2:3]
	v_fmac_f64_e32 v[10:11], v[10:11], v[18:19]
	v_fmac_f64_e32 v[16:17], v[20:21], v[10:11]
	v_fma_f64 v[18:19], -v[16:17], v[16:17], v[2:3]
	v_fmac_f64_e32 v[16:17], v[18:19], v[10:11]
	v_mov_b32_e32 v10, 0xffffff80
	v_cndmask_b32_e32 v10, 0, v10, vcc
	v_ldexp_f64 v[10:11], v[16:17], v10
	v_cmp_class_f64_e32 vcc, v[2:3], v15
	s_nop 1
	v_cndmask_b32_e32 v3, v11, v3, vcc
	v_cndmask_b32_e32 v2, v10, v2, vcc
	v_div_scale_f64 v[10:11], s[0:1], v[2:3], v[2:3], v[12:13]
	v_rcp_f64_e32 v[16:17], v[10:11]
	s_nop 0
	v_fma_f64 v[18:19], -v[10:11], v[16:17], 1.0
	v_fmac_f64_e32 v[16:17], v[16:17], v[18:19]
	v_fma_f64 v[18:19], -v[10:11], v[16:17], 1.0
	v_fmac_f64_e32 v[16:17], v[16:17], v[18:19]
	v_div_scale_f64 v[18:19], vcc, v[12:13], v[2:3], v[12:13]
	v_mul_f64 v[20:21], v[18:19], v[16:17]
	v_fma_f64 v[10:11], -v[10:11], v[20:21], v[18:19]
	s_nop 1
	v_div_fmas_f64 v[10:11], v[10:11], v[16:17], v[20:21]
	v_div_fixup_f64 v[10:11], v[10:11], v[2:3], v[12:13]
.LBB1_48:
	s_or_b64 exec, exec, s[4:5]
	s_mov_b32 s0, 0
	s_mov_b32 s1, 0x40140000
	v_cmp_ge_f64_e32 vcc, s[0:1], v[4:5]
	s_and_saveexec_b64 s[0:1], vcc
	s_xor_b64 s[0:1], exec, s[0:1]
	s_cbranch_execz .LBB1_54
; %bb.49:
	v_mov_b32_e32 v12, 0
	v_cmp_neq_f64_e32 vcc, 0, v[4:5]
	v_mov_b32_e32 v13, 0xfff00000
	s_and_saveexec_b64 s[4:5], vcc
	s_cbranch_execz .LBB1_53
; %bb.50:
	v_mov_b32_e32 v12, 0
	v_cmp_nge_f64_e32 vcc, 0, v[4:5]
	v_mov_b32_e32 v13, 0x7ff80000
	s_and_saveexec_b64 s[6:7], vcc
	s_cbranch_execz .LBB1_52
; %bb.51:
	v_mul_f64 v[2:3], v[4:5], v[4:5]
	v_mov_b32_e32 v12, 0x62f9b6c5
	v_mov_b32_e32 v13, 0x41d2d2be
	v_fmac_f64_e32 v[12:13], 0, v[2:3]
	v_mov_b32_e32 v16, 0x58836521
	v_mov_b32_e32 v17, 0xc262d72d
	v_fmac_f64_e32 v[16:17], v[2:3], v[12:13]
	;; [unrolled: 3-line block ×14, first 2 shown]
	v_div_scale_f64 v[12:13], s[8:9], v[18:19], v[18:19], v[16:17]
	v_rcp_f64_e32 v[20:21], v[12:13]
	v_mov_b32_e32 v26, 0xd438c6b
	v_mov_b32_e32 v27, 0x425a52ba
	;; [unrolled: 1-line block ×3, first 2 shown]
	v_fma_f64 v[22:23], -v[12:13], v[20:21], 1.0
	v_fmac_f64_e32 v[20:21], v[20:21], v[22:23]
	v_fma_f64 v[22:23], -v[12:13], v[20:21], 1.0
	v_fmac_f64_e32 v[20:21], v[20:21], v[22:23]
	v_div_scale_f64 v[22:23], vcc, v[16:17], v[18:19], v[16:17]
	v_mul_f64 v[24:25], v[22:23], v[20:21]
	v_fma_f64 v[12:13], -v[12:13], v[24:25], v[22:23]
	v_mov_b32_e32 v22, 0x4cda4fc5
	v_mov_b32_e32 v23, 0xc1cad23c
	v_fmac_f64_e32 v[22:23], 0, v[2:3]
	v_fmac_f64_e32 v[26:27], v[2:3], v[22:23]
	v_mov_b32_e32 v22, 0xe6ccf175
	v_mov_b32_e32 v23, 0xc2d08a92
	v_fmac_f64_e32 v[22:23], v[2:3], v[26:27]
	v_mov_b32_e32 v26, 0x1b7086e7
	v_mov_b32_e32 v27, 0x408366b1
	v_fmac_f64_e32 v[26:27], 0, v[2:3]
	v_mov_b32_e32 v29, 0x410f5eda
	v_fmac_f64_e32 v[28:29], v[2:3], v[26:27]
	v_mov_b32_e32 v26, 0xdc92a1b1
	v_mov_b32_e32 v27, 0x4193e954
	v_fmac_f64_e32 v[26:27], v[2:3], v[28:29]
	v_mov_b32_e32 v28, 0x7befeac1
	;; [unrolled: 3-line block ×7, first 2 shown]
	v_mov_b32_e32 v27, 0x432a2b42
	v_fmac_f64_e32 v[26:27], v[2:3], v[22:23]
	v_div_scale_f64 v[2:3], s[8:9], v[28:29], v[28:29], v[26:27]
	v_rcp_f64_e32 v[22:23], v[2:3]
	v_div_fmas_f64 v[12:13], v[12:13], v[20:21], v[24:25]
	v_div_fixup_f64 v[16:17], v[12:13], v[18:19], v[16:17]
	s_mov_b32 s8, 0x55555555
	v_fma_f64 v[12:13], -v[2:3], v[22:23], 1.0
	v_fmac_f64_e32 v[22:23], v[22:23], v[12:13]
	v_fma_f64 v[12:13], -v[2:3], v[22:23], 1.0
	v_fmac_f64_e32 v[22:23], v[22:23], v[12:13]
	v_div_scale_f64 v[12:13], vcc, v[26:27], v[28:29], v[26:27]
	v_mul_f64 v[18:19], v[12:13], v[22:23]
	v_fma_f64 v[2:3], -v[2:3], v[18:19], v[12:13]
	v_mov_b32_e32 v12, 0x4189822c
	s_nop 0
	v_div_fmas_f64 v[2:3], v[2:3], v[22:23], v[18:19]
	v_div_fixup_f64 v[2:3], v[2:3], v[28:29], v[26:27]
	v_mov_b32_e32 v13, 0xc02d5d2b
	v_mul_f64 v[2:3], v[4:5], v[2:3]
	v_fmac_f64_e32 v[12:13], v[4:5], v[4:5]
	v_mul_f64 v[2:3], v[12:13], v[2:3]
	v_mov_b32_e32 v12, 0x6072a432
	v_mov_b32_e32 v13, 0xc0489bf6
	v_fmac_f64_e32 v[12:13], v[4:5], v[4:5]
	v_mul_f64 v[2:3], v[12:13], v[2:3]
	v_frexp_mant_f64_e32 v[12:13], v[4:5]
	s_mov_b32 s9, 0x3fe55555
	v_cmp_gt_f64_e32 vcc, s[8:9], v[12:13]
	s_mov_b32 s8, 0xbf559e2b
	s_mov_b32 s9, 0x3fc3ab76
	v_cndmask_b32_e64 v18, 0, 1, vcc
	v_ldexp_f64 v[12:13], v[12:13], v18
	v_add_f64 v[18:19], v[12:13], 1.0
	v_rcp_f64_e32 v[20:21], v[18:19]
	v_add_f64 v[24:25], v[18:19], -1.0
	v_add_f64 v[22:23], v[12:13], -1.0
	v_add_f64 v[12:13], v[12:13], -v[24:25]
	v_fma_f64 v[24:25], -v[18:19], v[20:21], 1.0
	v_fmac_f64_e32 v[20:21], v[24:25], v[20:21]
	v_fma_f64 v[24:25], -v[18:19], v[20:21], 1.0
	v_fmac_f64_e32 v[20:21], v[24:25], v[20:21]
	v_mul_f64 v[24:25], v[22:23], v[20:21]
	v_mul_f64 v[26:27], v[18:19], v[24:25]
	v_fma_f64 v[18:19], v[24:25], v[18:19], -v[26:27]
	v_fmac_f64_e32 v[18:19], v[24:25], v[12:13]
	v_add_f64 v[12:13], v[26:27], v[18:19]
	v_add_f64 v[28:29], v[22:23], -v[12:13]
	v_add_f64 v[26:27], v[12:13], -v[26:27]
	;; [unrolled: 1-line block ×5, first 2 shown]
	v_add_f64 v[12:13], v[18:19], v[12:13]
	v_add_f64 v[12:13], v[28:29], v[12:13]
	v_mul_f64 v[12:13], v[20:21], v[12:13]
	v_add_f64 v[18:19], v[24:25], v[12:13]
	v_add_f64 v[20:21], v[18:19], -v[24:25]
	v_add_f64 v[12:13], v[12:13], -v[20:21]
	v_mul_f64 v[20:21], v[18:19], v[18:19]
	v_mov_b32_e32 v22, 0x6b47b09a
	v_mov_b32_e32 v23, 0x3fc38538
	v_fmac_f64_e32 v[22:23], s[8:9], v[20:21]
	v_mov_b32_e32 v24, 0xd7f4df2e
	v_mov_b32_e32 v25, 0x3fc7474d
	v_fmac_f64_e32 v[24:25], v[20:21], v[22:23]
	;; [unrolled: 3-line block ×6, first 2 shown]
	v_ldexp_f64 v[22:23], v[18:19], 1
	v_mul_f64 v[18:19], v[18:19], v[20:21]
	v_mul_f64 v[18:19], v[18:19], v[24:25]
	v_add_f64 v[20:21], v[22:23], v[18:19]
	v_add_f64 v[22:23], v[20:21], -v[22:23]
	v_ldexp_f64 v[12:13], v[12:13], 1
	v_add_f64 v[18:19], v[18:19], -v[22:23]
	v_add_f64 v[12:13], v[12:13], v[18:19]
	v_frexp_exp_i32_f64_e32 v15, v[4:5]
	v_add_f64 v[18:19], v[20:21], v[12:13]
	v_subbrev_co_u32_e32 v15, vcc, 0, v15, vcc
	v_add_f64 v[20:21], v[18:19], -v[20:21]
	s_mov_b32 s8, 0xfefa39ef
	v_add_f64 v[12:13], v[12:13], -v[20:21]
	v_cvt_f64_i32_e32 v[20:21], v15
	s_mov_b32 s9, 0x3fe62e42
	v_mul_f64 v[22:23], v[20:21], s[8:9]
	v_fma_f64 v[24:25], v[20:21], s[8:9], -v[22:23]
	s_mov_b32 s8, 0x3b39803f
	s_mov_b32 s9, 0x3c7abc9e
	v_fmac_f64_e32 v[24:25], s[8:9], v[20:21]
	v_add_f64 v[20:21], v[22:23], v[24:25]
	v_add_f64 v[22:23], v[20:21], -v[22:23]
	v_add_f64 v[22:23], v[24:25], -v[22:23]
	v_add_f64 v[24:25], v[20:21], v[18:19]
	v_add_f64 v[26:27], v[24:25], -v[20:21]
	v_add_f64 v[28:29], v[24:25], -v[26:27]
	;; [unrolled: 1-line block ×4, first 2 shown]
	v_add_f64 v[18:19], v[18:19], v[20:21]
	v_add_f64 v[20:21], v[22:23], v[12:13]
	v_add_f64 v[26:27], v[20:21], -v[22:23]
	v_add_f64 v[28:29], v[20:21], -v[26:27]
	v_add_f64 v[18:19], v[20:21], v[18:19]
	v_add_f64 v[22:23], v[22:23], -v[28:29]
	v_add_f64 v[12:13], v[12:13], -v[26:27]
	v_add_f64 v[20:21], v[24:25], v[18:19]
	v_add_f64 v[12:13], v[12:13], v[22:23]
	v_add_f64 v[22:23], v[20:21], -v[24:25]
	v_div_scale_f64 v[24:25], s[8:9], v[4:5], v[4:5], -1.0
	v_rcp_f64_e32 v[26:27], v[24:25]
	v_add_f64 v[18:19], v[18:19], -v[22:23]
	v_add_f64 v[12:13], v[12:13], v[18:19]
	v_add_f64 v[12:13], v[20:21], v[12:13]
	v_fma_f64 v[18:19], -v[24:25], v[26:27], 1.0
	v_fmac_f64_e32 v[26:27], v[26:27], v[18:19]
	v_fma_f64 v[18:19], -v[24:25], v[26:27], 1.0
	v_fmac_f64_e32 v[26:27], v[26:27], v[18:19]
	v_div_scale_f64 v[18:19], vcc, -1.0, v[4:5], -1.0
	v_mul_f64 v[20:21], v[18:19], v[26:27]
	v_fma_f64 v[18:19], -v[24:25], v[20:21], v[18:19]
	s_mov_b32 s8, 0x6dc9c883
	s_nop 0
	v_div_fmas_f64 v[18:19], v[18:19], v[26:27], v[20:21]
	v_div_fixup_f64 v[18:19], v[18:19], v[4:5], -1.0
	v_fmac_f64_e32 v[18:19], v[2:3], v[12:13]
	s_mov_b32 s9, 0x3fe45f30
	v_mul_f64 v[12:13], v[18:19], s[8:9]
	v_fmac_f64_e32 v[12:13], v[4:5], v[16:17]
.LBB1_52:
	s_or_b64 exec, exec, s[6:7]
.LBB1_53:
	s_or_b64 exec, exec, s[4:5]
                                        ; implicit-def: $vgpr4_vgpr5
.LBB1_54:
	s_andn2_saveexec_b64 s[4:5], s[0:1]
	s_cbranch_execz .LBB1_64
; %bb.55:
	s_mov_b32 s0, 0x7f3321d2
	s_mov_b32 s1, 0xc002d97c
	v_add_f64 v[2:3], v[4:5], s[0:1]
	s_mov_b32 s0, 0
	s_mov_b32 s1, 0x41d00000
	v_cmp_nlt_f64_e64 s[6:7], |v[2:3]|, s[0:1]
	v_trig_preop_f64 v[26:27], |v[2:3]|, 0
	v_trig_preop_f64 v[24:25], |v[2:3]|, 1
	v_trig_preop_f64 v[22:23], |v[2:3]|, 2
                                        ; implicit-def: $vgpr15
                                        ; implicit-def: $vgpr12_vgpr13
                                        ; implicit-def: $vgpr16_vgpr17
	s_and_saveexec_b64 s[0:1], s[6:7]
	s_xor_b64 s[8:9], exec, s[0:1]
	s_cbranch_execz .LBB1_57
; %bb.56:
	s_mov_b32 s0, 0
	s_mov_b32 s1, 0x7b000000
	s_movk_i32 s10, 0xff80
	v_and_b32_e32 v15, 0x7fffffff, v3
	v_ldexp_f64 v[12:13], |v[2:3]|, s10
	v_cmp_ge_f64_e64 vcc, |v[2:3]|, s[0:1]
	s_mov_b32 s0, 0
	s_mov_b32 s1, 0x7ff00000
	v_cndmask_b32_e32 v13, v15, v13, vcc
	v_cndmask_b32_e32 v12, v2, v12, vcc
	v_mul_f64 v[18:19], v[26:27], v[12:13]
	v_mul_f64 v[16:17], v[24:25], v[12:13]
	v_fma_f64 v[20:21], v[26:27], v[12:13], -v[18:19]
	v_add_f64 v[28:29], v[16:17], v[20:21]
	v_add_f64 v[36:37], v[28:29], -v[16:17]
	v_add_f64 v[20:21], v[20:21], -v[36:37]
	;; [unrolled: 1-line block ×4, first 2 shown]
	v_add_f64 v[20:21], v[20:21], v[36:37]
	v_fma_f64 v[16:17], v[24:25], v[12:13], -v[16:17]
	v_mul_f64 v[36:37], v[22:23], v[12:13]
	v_add_f64 v[38:39], v[36:37], v[16:17]
	v_add_f64 v[30:31], v[18:19], v[28:29]
	;; [unrolled: 1-line block ×3, first 2 shown]
	v_ldexp_f64 v[32:33], v[30:31], -2
	v_add_f64 v[18:19], v[30:31], -v[18:19]
	v_add_f64 v[30:31], v[48:49], -v[38:39]
	;; [unrolled: 1-line block ×5, first 2 shown]
	v_add_f64 v[20:21], v[20:21], v[30:31]
	v_add_f64 v[30:31], v[38:39], -v[36:37]
	v_add_f64 v[16:17], v[16:17], -v[30:31]
	;; [unrolled: 1-line block ×5, first 2 shown]
	v_add_f64 v[16:17], v[16:17], v[30:31]
	v_fract_f64_e32 v[34:35], v[32:33]
	v_add_f64 v[28:29], v[18:19], v[48:49]
	v_add_f64 v[16:17], v[16:17], v[20:21]
	v_fma_f64 v[12:13], v[22:23], v[12:13], -v[36:37]
	v_add_f64 v[18:19], v[28:29], -v[18:19]
	v_add_f64 v[12:13], v[12:13], v[16:17]
	v_ldexp_f64 v[16:17], v[34:35], 2
	v_cmp_neq_f64_e64 vcc, |v[32:33]|, s[0:1]
	v_add_f64 v[18:19], v[48:49], -v[18:19]
	v_add_f64 v[12:13], v[18:19], v[12:13]
	v_cndmask_b32_e32 v17, 0, v17, vcc
	v_cndmask_b32_e32 v16, 0, v16, vcc
	v_add_f64 v[18:19], v[28:29], v[16:17]
	v_mov_b32_e32 v15, 0x40100000
	v_cmp_gt_f64_e32 vcc, 0, v[18:19]
	v_mov_b32_e32 v18, 0
	s_mov_b32 s10, 0x33145c07
	v_cndmask_b32_e32 v19, 0, v15, vcc
	v_add_f64 v[16:17], v[16:17], v[18:19]
	v_add_f64 v[20:21], v[28:29], v[16:17]
	v_cvt_i32_f64_e32 v15, v[20:21]
	v_cvt_f64_i32_e32 v[20:21], v15
	v_add_f64 v[16:17], v[16:17], -v[20:21]
	v_add_f64 v[20:21], v[28:29], v[16:17]
	v_add_f64 v[16:17], v[20:21], -v[16:17]
	v_add_f64 v[16:17], v[28:29], -v[16:17]
	v_add_f64 v[12:13], v[12:13], v[16:17]
	v_cmp_le_f64_e32 vcc, 0.5, v[20:21]
	v_mov_b32_e32 v16, 0x3ff00000
	s_mov_b32 s11, 0x3c91a626
	v_cndmask_b32_e32 v19, 0, v16, vcc
	v_addc_co_u32_e64 v15, s[0:1], 0, v15, vcc
	v_add_f64 v[16:17], v[20:21], -v[18:19]
	v_add_f64 v[18:19], v[16:17], v[12:13]
	s_mov_b32 s0, 0x54442d18
	v_add_f64 v[16:17], v[18:19], -v[16:17]
	s_mov_b32 s1, 0x3ff921fb
	v_add_f64 v[12:13], v[12:13], -v[16:17]
	v_mul_f64 v[16:17], v[18:19], s[0:1]
	v_fma_f64 v[20:21], v[18:19], s[0:1], -v[16:17]
	v_fmac_f64_e32 v[20:21], s[10:11], v[18:19]
	v_fmac_f64_e32 v[20:21], s[0:1], v[12:13]
	v_add_f64 v[12:13], v[16:17], v[20:21]
	v_add_f64 v[16:17], v[12:13], -v[16:17]
	v_add_f64 v[16:17], v[20:21], -v[16:17]
	s_andn2_saveexec_b64 s[0:1], s[8:9]
	s_cbranch_execz .LBB1_59
	s_branch .LBB1_58
.LBB1_57:
	s_andn2_saveexec_b64 s[0:1], s[8:9]
	s_cbranch_execz .LBB1_59
.LBB1_58:
	s_mov_b32 s8, 0x6dc9c883
	s_mov_b32 s9, 0x3fe45f30
	v_mul_f64 v[12:13], |v[2:3]|, s[8:9]
	s_mov_b32 s8, 0x54442d18
	v_rndne_f64_e32 v[18:19], v[12:13]
	s_mov_b32 s9, 0xbff921fb
	v_fma_f64 v[12:13], v[18:19], s[8:9], |v[2:3]|
	s_mov_b32 s9, 0xbc91a626
	s_mov_b32 s8, 0x33145c00
	v_mul_f64 v[20:21], v[18:19], s[8:9]
	v_add_f64 v[30:31], v[12:13], v[20:21]
	v_fma_f64 v[16:17], s[8:9], v[18:19], v[12:13]
	s_mov_b32 s9, 0x3c91a626
	v_add_f64 v[12:13], v[12:13], -v[30:31]
	v_fma_f64 v[28:29], s[8:9], v[18:19], v[20:21]
	v_add_f64 v[12:13], v[12:13], v[20:21]
	v_add_f64 v[20:21], v[30:31], -v[16:17]
	v_add_f64 v[12:13], v[20:21], v[12:13]
	s_mov_b32 s8, 0x252049c0
	v_add_f64 v[20:21], v[12:13], -v[28:29]
	s_mov_b32 s9, 0xb97b839a
	v_fmac_f64_e32 v[20:21], s[8:9], v[18:19]
	v_add_f64 v[12:13], v[16:17], v[20:21]
	v_add_f64 v[16:17], v[12:13], -v[16:17]
	v_add_f64 v[16:17], v[20:21], -v[16:17]
	v_cvt_i32_f64_e32 v15, v[18:19]
.LBB1_59:
	s_or_b64 exec, exec, s[0:1]
                                        ; implicit-def: $vgpr28
                                        ; implicit-def: $vgpr18_vgpr19
                                        ; implicit-def: $vgpr20_vgpr21
	s_and_saveexec_b64 s[0:1], s[6:7]
	s_xor_b64 s[6:7], exec, s[0:1]
	s_cbranch_execz .LBB1_61
; %bb.60:
	s_mov_b32 s0, 0
	s_mov_b32 s1, 0x7b000000
	s_movk_i32 s8, 0xff80
	v_and_b32_e32 v20, 0x7fffffff, v3
	v_ldexp_f64 v[18:19], |v[2:3]|, s8
	v_cmp_ge_f64_e64 vcc, |v[2:3]|, s[0:1]
	s_mov_b32 s0, 0
	s_mov_b32 s1, 0x7ff00000
	v_cndmask_b32_e32 v19, v20, v19, vcc
	v_cndmask_b32_e32 v18, v2, v18, vcc
	v_mul_f64 v[28:29], v[26:27], v[18:19]
	v_mul_f64 v[20:21], v[24:25], v[18:19]
	v_fma_f64 v[26:27], v[26:27], v[18:19], -v[28:29]
	v_add_f64 v[30:31], v[20:21], v[26:27]
	v_add_f64 v[38:39], v[30:31], -v[20:21]
	v_add_f64 v[26:27], v[26:27], -v[38:39]
	v_add_f64 v[38:39], v[30:31], -v[38:39]
	v_add_f64 v[38:39], v[20:21], -v[38:39]
	v_fma_f64 v[20:21], v[24:25], v[18:19], -v[20:21]
	v_mul_f64 v[24:25], v[22:23], v[18:19]
	v_add_f64 v[26:27], v[26:27], v[38:39]
	v_add_f64 v[38:39], v[24:25], v[20:21]
	;; [unrolled: 1-line block ×4, first 2 shown]
	v_ldexp_f64 v[34:35], v[32:33], -2
	v_add_f64 v[28:29], v[32:33], -v[28:29]
	v_add_f64 v[32:33], v[48:49], -v[38:39]
	;; [unrolled: 1-line block ×5, first 2 shown]
	v_add_f64 v[26:27], v[26:27], v[32:33]
	v_add_f64 v[32:33], v[38:39], -v[24:25]
	v_add_f64 v[20:21], v[20:21], -v[32:33]
	;; [unrolled: 1-line block ×4, first 2 shown]
	v_add_f64 v[20:21], v[20:21], v[32:33]
	v_fract_f64_e32 v[36:37], v[34:35]
	v_add_f64 v[20:21], v[20:21], v[26:27]
	v_fma_f64 v[18:19], v[22:23], v[18:19], -v[24:25]
	v_add_f64 v[28:29], v[30:31], -v[28:29]
	v_add_f64 v[18:19], v[18:19], v[20:21]
	v_ldexp_f64 v[20:21], v[36:37], 2
	v_cmp_neq_f64_e64 vcc, |v[34:35]|, s[0:1]
	v_add_f64 v[30:31], v[28:29], v[48:49]
	v_mov_b32_e32 v24, 0x40100000
	v_cndmask_b32_e32 v21, 0, v21, vcc
	v_cndmask_b32_e32 v20, 0, v20, vcc
	v_add_f64 v[22:23], v[30:31], v[20:21]
	v_cmp_gt_f64_e32 vcc, 0, v[22:23]
	v_mov_b32_e32 v22, 0
	v_add_f64 v[28:29], v[30:31], -v[28:29]
	v_cndmask_b32_e32 v23, 0, v24, vcc
	v_add_f64 v[20:21], v[20:21], v[22:23]
	v_add_f64 v[24:25], v[30:31], v[20:21]
	v_cvt_i32_f64_e32 v23, v[24:25]
	v_cvt_f64_i32_e32 v[24:25], v23
	v_add_f64 v[20:21], v[20:21], -v[24:25]
	v_add_f64 v[24:25], v[30:31], v[20:21]
	v_add_f64 v[28:29], v[48:49], -v[28:29]
	v_add_f64 v[20:21], v[24:25], -v[20:21]
	v_add_f64 v[18:19], v[28:29], v[18:19]
	v_add_f64 v[20:21], v[30:31], -v[20:21]
	v_add_f64 v[18:19], v[18:19], v[20:21]
	v_cmp_le_f64_e32 vcc, 0.5, v[24:25]
	v_mov_b32_e32 v20, 0x3ff00000
	s_mov_b32 s8, 0x33145c07
	v_addc_co_u32_e64 v28, s[0:1], 0, v23, vcc
	v_cndmask_b32_e32 v23, 0, v20, vcc
	v_add_f64 v[20:21], v[24:25], -v[22:23]
	v_add_f64 v[22:23], v[20:21], v[18:19]
	s_mov_b32 s0, 0x54442d18
	v_add_f64 v[20:21], v[22:23], -v[20:21]
	s_mov_b32 s1, 0x3ff921fb
	v_add_f64 v[18:19], v[18:19], -v[20:21]
	v_mul_f64 v[20:21], v[22:23], s[0:1]
	v_fma_f64 v[24:25], v[22:23], s[0:1], -v[20:21]
	s_mov_b32 s9, 0x3c91a626
	v_fmac_f64_e32 v[24:25], s[8:9], v[22:23]
	v_fmac_f64_e32 v[24:25], s[0:1], v[18:19]
	v_add_f64 v[18:19], v[20:21], v[24:25]
	v_add_f64 v[20:21], v[18:19], -v[20:21]
	v_add_f64 v[20:21], v[24:25], -v[20:21]
	s_andn2_saveexec_b64 s[0:1], s[6:7]
	s_cbranch_execnz .LBB1_62
	s_branch .LBB1_63
.LBB1_61:
	s_andn2_saveexec_b64 s[0:1], s[6:7]
	s_cbranch_execz .LBB1_63
.LBB1_62:
	s_mov_b32 s6, 0x6dc9c883
	s_mov_b32 s7, 0x3fe45f30
	v_mul_f64 v[18:19], |v[2:3]|, s[6:7]
	s_mov_b32 s6, 0x54442d18
	v_rndne_f64_e32 v[22:23], v[18:19]
	s_mov_b32 s7, 0xbff921fb
	v_fma_f64 v[18:19], v[22:23], s[6:7], |v[2:3]|
	s_mov_b32 s7, 0xbc91a626
	s_mov_b32 s6, 0x33145c00
	v_mul_f64 v[24:25], v[22:23], s[6:7]
	v_add_f64 v[28:29], v[18:19], v[24:25]
	v_fma_f64 v[20:21], s[6:7], v[22:23], v[18:19]
	s_mov_b32 s7, 0x3c91a626
	v_add_f64 v[18:19], v[18:19], -v[28:29]
	v_fma_f64 v[26:27], s[6:7], v[22:23], v[24:25]
	v_add_f64 v[18:19], v[18:19], v[24:25]
	v_add_f64 v[24:25], v[28:29], -v[20:21]
	v_add_f64 v[18:19], v[24:25], v[18:19]
	s_mov_b32 s6, 0x252049c0
	v_add_f64 v[24:25], v[18:19], -v[26:27]
	s_mov_b32 s7, 0xb97b839a
	v_fmac_f64_e32 v[24:25], s[6:7], v[22:23]
	v_add_f64 v[18:19], v[20:21], v[24:25]
	v_add_f64 v[20:21], v[18:19], -v[20:21]
	v_add_f64 v[20:21], v[24:25], -v[20:21]
	v_cvt_i32_f64_e32 v28, v[22:23]
.LBB1_63:
	s_or_b64 exec, exec, s[0:1]
	s_mov_b32 s0, 0
	s_mov_b32 s1, 0x40140000
	v_div_scale_f64 v[22:23], s[6:7], v[4:5], v[4:5], s[0:1]
	v_rcp_f64_e32 v[24:25], v[22:23]
	v_mov_b32_e32 v32, 0x5948aa83
	v_mov_b32_e32 v33, 0x3fb19fdd
	v_mov_b32_e32 v34, 0xc66d8fd6
	v_fma_f64 v[26:27], -v[22:23], v[24:25], 1.0
	v_fmac_f64_e32 v[24:25], v[24:25], v[26:27]
	v_fma_f64 v[26:27], -v[22:23], v[24:25], 1.0
	v_fmac_f64_e32 v[24:25], v[24:25], v[26:27]
	v_div_scale_f64 v[26:27], vcc, s[0:1], v[4:5], s[0:1]
	v_mul_f64 v[30:31], v[26:27], v[24:25]
	v_fma_f64 v[22:23], -v[22:23], v[30:31], v[26:27]
	v_mov_b32_e32 v26, 0x4c6c651b
	s_nop 0
	v_div_fmas_f64 v[22:23], v[22:23], v[24:25], v[30:31]
	v_div_fixup_f64 v[22:23], v[22:23], v[4:5], s[0:1]
	v_mul_f64 v[24:25], v[22:23], v[22:23]
	v_mov_b32_e32 v27, 0x3f48f92c
	v_fmac_f64_e32 v[26:27], 0, v[24:25]
	v_mov_b32_e32 v30, 0xa3fec4b6
	v_mov_b32_e32 v31, 0x3fb2b948
	v_fmac_f64_e32 v[30:31], v[24:25], v[26:27]
	v_mov_b32_e32 v26, 0xc21596d6
	;; [unrolled: 3-line block ×6, first 2 shown]
	v_mov_b32_e32 v27, 0x3f42b89b
	v_fmac_f64_e32 v[26:27], 0, v[24:25]
	v_fmac_f64_e32 v[32:33], v[24:25], v[26:27]
	v_mov_b32_e32 v26, 0xb850eed6
	v_mov_b32_e32 v27, 0x3ff1aea9
	v_fmac_f64_e32 v[26:27], v[24:25], v[32:33]
	v_mov_b32_e32 v32, 0xf7d251a1
	v_mov_b32_e32 v33, 0x40144ba2
	;; [unrolled: 3-line block ×4, first 2 shown]
	v_fmac_f64_e32 v[32:33], v[24:25], v[26:27]
	v_fma_f64 v[26:27], v[24:25], v[32:33], 1.0
	v_mov_b32_e32 v32, 0x6b70ba40
	v_mov_b32_e32 v33, 0x3faa27fa
	v_fmac_f64_e32 v[32:33], 0, v[24:25]
	v_mov_b32_e32 v35, 0x4013edb5
	v_fmac_f64_e32 v[34:35], v[24:25], v[32:33]
	v_mov_b32_e32 v32, 0x9acf1c67
	v_mov_b32_e32 v33, 0x4052f4b9
	v_fmac_f64_e32 v[32:33], v[24:25], v[34:35]
	v_mov_b32_e32 v34, 0x47aa180d
	;; [unrolled: 3-line block ×12, first 2 shown]
	v_mov_b32_e32 v37, 0x40a61462
	v_fma_f64 v[30:31], v[24:25], v[30:31], 1.0
	v_fmac_f64_e32 v[36:37], v[24:25], v[32:33]
	v_div_scale_f64 v[32:33], s[0:1], v[26:27], v[26:27], v[30:31]
	v_rcp_f64_e32 v[38:39], v[32:33]
	v_mov_b32_e32 v48, 0x6ae75997
	v_mov_b32_e32 v49, 0x4075017f
	v_fmac_f64_e32 v[48:49], v[24:25], v[36:37]
	v_fma_f64 v[24:25], -v[32:33], v[38:39], 1.0
	v_fmac_f64_e32 v[38:39], v[38:39], v[24:25]
	v_fma_f64 v[24:25], -v[32:33], v[38:39], 1.0
	v_fmac_f64_e32 v[38:39], v[38:39], v[24:25]
	v_div_scale_f64 v[24:25], vcc, v[30:31], v[26:27], v[30:31]
	v_mul_f64 v[36:37], v[24:25], v[38:39]
	v_fma_f64 v[24:25], -v[32:33], v[36:37], v[24:25]
	s_mov_b32 s0, 0x9037ab78
	s_nop 0
	v_div_fmas_f64 v[24:25], v[24:25], v[38:39], v[36:37]
	s_mov_b32 s1, 0x3e21eeb6
	s_mov_b32 s6, 0x46cc5e42
	v_div_fixup_f64 v[24:25], v[24:25], v[26:27], v[30:31]
	v_mul_f64 v[26:27], v[12:13], v[12:13]
	s_mov_b32 s7, 0xbda907db
	v_mov_b64_e32 v[38:39], s[0:1]
	s_mov_b32 s8, 0xa17f65f6
	v_mul_f64 v[30:31], v[26:27], 0.5
	v_fma_f64 v[50:51], s[6:7], v[26:27], v[38:39]
	s_mov_b32 s9, 0xbe927e4f
	s_mov_b32 s10, 0x19f4ec90
	v_add_f64 v[32:33], -v[30:31], 1.0
	v_fma_f64 v[50:51], v[26:27], v[50:51], s[8:9]
	s_mov_b32 s11, 0x3efa01a0
	s_mov_b32 s12, 0x16c16967
	v_add_f64 v[36:37], -v[32:33], 1.0
	v_fma_f64 v[50:51], v[26:27], v[50:51], s[10:11]
	s_mov_b32 s13, 0xbf56c16c
	s_mov_b32 s14, 0x55555555
	v_add_f64 v[30:31], v[36:37], -v[30:31]
	v_fma_f64 v[50:51], v[26:27], v[50:51], s[12:13]
	s_mov_b32 s15, 0x3fa55555
	v_mul_f64 v[36:37], v[26:27], v[26:27]
	v_fma_f64 v[50:51], v[26:27], v[50:51], s[14:15]
	v_fma_f64 v[30:31], v[12:13], -v[16:17], v[30:31]
	s_mov_b32 s0, 0xb42fdfa7
	v_fmac_f64_e32 v[30:31], v[36:37], v[50:51]
	s_mov_b32 s1, 0xbe5ae600
	s_mov_b32 s16, 0xf9a43bb8
	v_add_f64 v[30:31], v[32:33], v[30:31]
	s_mov_b32 s17, 0x3de5e0b2
	v_mov_b64_e32 v[32:33], s[0:1]
	s_mov_b32 s18, 0x796cde01
	v_fma_f64 v[36:37], s[16:17], v[26:27], v[32:33]
	s_mov_b32 s19, 0x3ec71de3
	s_mov_b32 s20, 0x19e83e5c
	v_fma_f64 v[36:37], v[26:27], v[36:37], s[18:19]
	s_mov_b32 s21, 0xbf2a01a0
	;; [unrolled: 3-line block ×3, first 2 shown]
	v_fma_f64 v[36:37], v[26:27], v[36:37], s[22:23]
	v_mul_f64 v[50:51], v[12:13], -v[26:27]
	v_mul_f64 v[52:53], v[16:17], 0.5
	v_fmac_f64_e32 v[52:53], v[50:51], v[36:37]
	v_fma_f64 v[16:17], v[26:27], v[52:53], -v[16:17]
	s_mov_b32 s25, 0xbfc55555
	s_mov_b32 s24, s14
	v_fmac_f64_e32 v[16:17], s[24:25], v[50:51]
	v_add_f64 v[12:13], v[12:13], -v[16:17]
	v_and_b32_e32 v16, 1, v15
	v_cmp_eq_u32_e32 vcc, 0, v16
	s_brev_b32 s26, 1
	s_movk_i32 s27, 0x1f8
	v_cndmask_b32_e32 v26, v30, v12, vcc
	v_cndmask_b32_e32 v12, v31, v13, vcc
	v_lshlrev_b32_e32 v13, 30, v15
	v_xor_b32_e32 v13, v13, v3
	v_bitop3_b32 v15, v12, v13, s26 bitop3:0x78
	v_div_scale_f64 v[12:13], s[0:1], v[48:49], v[48:49], v[34:35]
	v_rcp_f64_e32 v[16:17], v[12:13]
	v_cmp_class_f64_e64 s[0:1], v[2:3], s27
	v_mov_b32_e32 v29, 0x7ff80000
	s_nop 0
	v_cndmask_b32_e64 v2, 0, v26, s[0:1]
	v_fma_f64 v[26:27], -v[12:13], v[16:17], 1.0
	v_fmac_f64_e32 v[16:17], v[16:17], v[26:27]
	v_fma_f64 v[26:27], -v[12:13], v[16:17], 1.0
	v_fmac_f64_e32 v[16:17], v[16:17], v[26:27]
	v_div_scale_f64 v[26:27], vcc, v[34:35], v[48:49], v[34:35]
	v_mul_f64 v[30:31], v[26:27], v[16:17]
	v_fma_f64 v[12:13], -v[12:13], v[30:31], v[26:27]
	v_cndmask_b32_e64 v3, v29, v15, s[0:1]
	s_nop 0
	v_div_fmas_f64 v[12:13], v[12:13], v[16:17], v[30:31]
	v_div_fixup_f64 v[12:13], v[12:13], v[48:49], v[34:35]
	v_mul_f64 v[16:17], v[18:19], v[18:19]
	v_mul_f64 v[12:13], v[22:23], v[12:13]
	v_mul_f64 v[22:23], v[16:17], 0.5
	v_fmac_f64_e32 v[38:39], s[6:7], v[16:17]
	v_add_f64 v[26:27], -v[22:23], 1.0
	v_fma_f64 v[34:35], v[16:17], v[38:39], s[8:9]
	v_add_f64 v[30:31], -v[26:27], 1.0
	v_fma_f64 v[34:35], v[16:17], v[34:35], s[10:11]
	v_add_f64 v[22:23], v[30:31], -v[22:23]
	v_fma_f64 v[34:35], v[16:17], v[34:35], s[12:13]
	v_mul_f64 v[30:31], v[16:17], v[16:17]
	v_fma_f64 v[34:35], v[16:17], v[34:35], s[14:15]
	v_fma_f64 v[22:23], v[18:19], -v[20:21], v[22:23]
	v_fmac_f64_e32 v[22:23], v[30:31], v[34:35]
	v_fmac_f64_e32 v[32:33], s[16:17], v[16:17]
	v_add_f64 v[22:23], v[26:27], v[22:23]
	v_fma_f64 v[26:27], v[16:17], v[32:33], s[18:19]
	v_fma_f64 v[26:27], v[16:17], v[26:27], s[20:21]
	;; [unrolled: 1-line block ×3, first 2 shown]
	v_mul_f64 v[30:31], v[18:19], -v[16:17]
	v_mul_f64 v[32:33], v[20:21], 0.5
	v_fmac_f64_e32 v[32:33], v[30:31], v[26:27]
	v_fma_f64 v[16:17], v[16:17], v[32:33], -v[20:21]
	v_fmac_f64_e32 v[16:17], s[24:25], v[30:31]
	v_add_f64 v[16:17], v[18:19], -v[16:17]
	v_xor_b32_e32 v15, 0x80000000, v17
	v_and_b32_e32 v17, 1, v28
	v_cmp_eq_u32_e32 vcc, 0, v17
	v_lshlrev_b32_e32 v17, 30, v28
	s_nop 0
	v_cndmask_b32_e32 v15, v15, v23, vcc
	v_cndmask_b32_e32 v16, v16, v22, vcc
	v_bitop3_b32 v15, v15, v17, s26 bitop3:0x78
	v_cndmask_b32_e64 v16, 0, v16, s[0:1]
	v_cndmask_b32_e64 v17, v29, v15, s[0:1]
	s_mov_b32 s0, 0
	v_mul_f64 v[12:13], v[12:13], v[16:17]
	s_brev_b32 s1, 8
	v_fmac_f64_e32 v[12:13], v[24:25], v[2:3]
	v_mov_b32_e32 v2, 0x100
	v_cmp_gt_f64_e32 vcc, s[0:1], v[4:5]
	s_mov_b32 s0, 0x33d43651
	v_mov_b32_e32 v15, 0x260
	v_cndmask_b32_e32 v2, 0, v2, vcc
	v_ldexp_f64 v[2:3], v[4:5], v2
	v_rsq_f64_e32 v[4:5], v[2:3]
	s_mov_b32 s1, 0x3fe98845
	v_mul_f64 v[12:13], v[12:13], s[0:1]
	v_mul_f64 v[16:17], v[2:3], v[4:5]
	v_mul_f64 v[4:5], v[4:5], 0.5
	v_fma_f64 v[18:19], -v[4:5], v[16:17], 0.5
	v_fmac_f64_e32 v[16:17], v[16:17], v[18:19]
	v_fma_f64 v[20:21], -v[16:17], v[16:17], v[2:3]
	v_fmac_f64_e32 v[4:5], v[4:5], v[18:19]
	v_fmac_f64_e32 v[16:17], v[20:21], v[4:5]
	v_fma_f64 v[18:19], -v[16:17], v[16:17], v[2:3]
	v_fmac_f64_e32 v[16:17], v[18:19], v[4:5]
	v_mov_b32_e32 v4, 0xffffff80
	v_cndmask_b32_e32 v4, 0, v4, vcc
	v_ldexp_f64 v[4:5], v[16:17], v4
	v_cmp_class_f64_e32 vcc, v[2:3], v15
	s_nop 1
	v_cndmask_b32_e32 v3, v5, v3, vcc
	v_cndmask_b32_e32 v2, v4, v2, vcc
	v_div_scale_f64 v[4:5], s[0:1], v[2:3], v[2:3], v[12:13]
	v_rcp_f64_e32 v[16:17], v[4:5]
	s_nop 0
	v_fma_f64 v[18:19], -v[4:5], v[16:17], 1.0
	v_fmac_f64_e32 v[16:17], v[16:17], v[18:19]
	v_fma_f64 v[18:19], -v[4:5], v[16:17], 1.0
	v_fmac_f64_e32 v[16:17], v[16:17], v[18:19]
	v_div_scale_f64 v[18:19], vcc, v[12:13], v[2:3], v[12:13]
	v_mul_f64 v[20:21], v[18:19], v[16:17]
	v_fma_f64 v[4:5], -v[4:5], v[20:21], v[18:19]
	s_nop 1
	v_div_fmas_f64 v[4:5], v[4:5], v[16:17], v[20:21]
	v_div_fixup_f64 v[12:13], v[4:5], v[2:3], v[12:13]
.LBB1_64:
	s_or_b64 exec, exec, s[4:5]
	v_lshl_add_u64 v[0:1], s[2:3], 3, v[0:1]
	v_mov_b32_e32 v15, 0
	v_lshl_add_u64 v[0:1], v[0:1], 0, v[14:15]
	flat_store_dwordx4 v[0:1], v[6:9]
	flat_store_dwordx4 v[0:1], v[10:13] offset:16
	s_waitcnt vmcnt(0) lgkmcnt(0)
	s_setpc_b64 s[30:31]
.Lfunc_end1:
	.size	_ZN2at6native25elementwise_kernel_helperILb0EZZZNS0_12_GLOBAL__N_121bessel_y1_kernel_cudaERNS_18TensorIteratorBaseEENKUlvE_clEvENKUlvE_clEvEUldE_NS0_6memory8policies10vectorizedILi4ESt5arrayIPcLm2EELi4EEEEEvT0_T1_, .Lfunc_end1-_ZN2at6native25elementwise_kernel_helperILb0EZZZNS0_12_GLOBAL__N_121bessel_y1_kernel_cudaERNS_18TensorIteratorBaseEENKUlvE_clEvENKUlvE_clEvEUldE_NS0_6memory8policies10vectorizedILi4ESt5arrayIPcLm2EELi4EEEEEvT0_T1_
                                        ; -- End function
	.set .L_ZN2at6native25elementwise_kernel_helperILb0EZZZNS0_12_GLOBAL__N_121bessel_y1_kernel_cudaERNS_18TensorIteratorBaseEENKUlvE_clEvENKUlvE_clEvEUldE_NS0_6memory8policies10vectorizedILi4ESt5arrayIPcLm2EELi4EEEEEvT0_T1_.num_vgpr, 54
	.set .L_ZN2at6native25elementwise_kernel_helperILb0EZZZNS0_12_GLOBAL__N_121bessel_y1_kernel_cudaERNS_18TensorIteratorBaseEENKUlvE_clEvENKUlvE_clEvEUldE_NS0_6memory8policies10vectorizedILi4ESt5arrayIPcLm2EELi4EEEEEvT0_T1_.num_agpr, 0
	.set .L_ZN2at6native25elementwise_kernel_helperILb0EZZZNS0_12_GLOBAL__N_121bessel_y1_kernel_cudaERNS_18TensorIteratorBaseEENKUlvE_clEvENKUlvE_clEvEUldE_NS0_6memory8policies10vectorizedILi4ESt5arrayIPcLm2EELi4EEEEEvT0_T1_.numbered_sgpr, 32
	.set .L_ZN2at6native25elementwise_kernel_helperILb0EZZZNS0_12_GLOBAL__N_121bessel_y1_kernel_cudaERNS_18TensorIteratorBaseEENKUlvE_clEvENKUlvE_clEvEUldE_NS0_6memory8policies10vectorizedILi4ESt5arrayIPcLm2EELi4EEEEEvT0_T1_.num_named_barrier, 0
	.set .L_ZN2at6native25elementwise_kernel_helperILb0EZZZNS0_12_GLOBAL__N_121bessel_y1_kernel_cudaERNS_18TensorIteratorBaseEENKUlvE_clEvENKUlvE_clEvEUldE_NS0_6memory8policies10vectorizedILi4ESt5arrayIPcLm2EELi4EEEEEvT0_T1_.private_seg_size, 0
	.set .L_ZN2at6native25elementwise_kernel_helperILb0EZZZNS0_12_GLOBAL__N_121bessel_y1_kernel_cudaERNS_18TensorIteratorBaseEENKUlvE_clEvENKUlvE_clEvEUldE_NS0_6memory8policies10vectorizedILi4ESt5arrayIPcLm2EELi4EEEEEvT0_T1_.uses_vcc, 1
	.set .L_ZN2at6native25elementwise_kernel_helperILb0EZZZNS0_12_GLOBAL__N_121bessel_y1_kernel_cudaERNS_18TensorIteratorBaseEENKUlvE_clEvENKUlvE_clEvEUldE_NS0_6memory8policies10vectorizedILi4ESt5arrayIPcLm2EELi4EEEEEvT0_T1_.uses_flat_scratch, 0
	.set .L_ZN2at6native25elementwise_kernel_helperILb0EZZZNS0_12_GLOBAL__N_121bessel_y1_kernel_cudaERNS_18TensorIteratorBaseEENKUlvE_clEvENKUlvE_clEvEUldE_NS0_6memory8policies10vectorizedILi4ESt5arrayIPcLm2EELi4EEEEEvT0_T1_.has_dyn_sized_stack, 0
	.set .L_ZN2at6native25elementwise_kernel_helperILb0EZZZNS0_12_GLOBAL__N_121bessel_y1_kernel_cudaERNS_18TensorIteratorBaseEENKUlvE_clEvENKUlvE_clEvEUldE_NS0_6memory8policies10vectorizedILi4ESt5arrayIPcLm2EELi4EEEEEvT0_T1_.has_recursion, 0
	.set .L_ZN2at6native25elementwise_kernel_helperILb0EZZZNS0_12_GLOBAL__N_121bessel_y1_kernel_cudaERNS_18TensorIteratorBaseEENKUlvE_clEvENKUlvE_clEvEUldE_NS0_6memory8policies10vectorizedILi4ESt5arrayIPcLm2EELi4EEEEEvT0_T1_.has_indirect_call, 0
	.section	.AMDGPU.csdata,"",@progbits
; Function info:
; codeLenInByte = 20556
; TotalNumSgprs: 38
; NumVgprs: 54
; NumAgprs: 0
; TotalNumVgprs: 54
; ScratchSize: 0
; MemoryBound: 0
	.section	.text._ZN2at6native29vectorized_elementwise_kernelILi16EZZZNS0_12_GLOBAL__N_121bessel_y1_kernel_cudaERNS_18TensorIteratorBaseEENKUlvE_clEvENKUlvE_clEvEUldE_St5arrayIPcLm2EEEEviT0_T1_,"axG",@progbits,_ZN2at6native29vectorized_elementwise_kernelILi16EZZZNS0_12_GLOBAL__N_121bessel_y1_kernel_cudaERNS_18TensorIteratorBaseEENKUlvE_clEvENKUlvE_clEvEUldE_St5arrayIPcLm2EEEEviT0_T1_,comdat
	.globl	_ZN2at6native29vectorized_elementwise_kernelILi16EZZZNS0_12_GLOBAL__N_121bessel_y1_kernel_cudaERNS_18TensorIteratorBaseEENKUlvE_clEvENKUlvE_clEvEUldE_St5arrayIPcLm2EEEEviT0_T1_ ; -- Begin function _ZN2at6native29vectorized_elementwise_kernelILi16EZZZNS0_12_GLOBAL__N_121bessel_y1_kernel_cudaERNS_18TensorIteratorBaseEENKUlvE_clEvENKUlvE_clEvEUldE_St5arrayIPcLm2EEEEviT0_T1_
	.p2align	8
	.type	_ZN2at6native29vectorized_elementwise_kernelILi16EZZZNS0_12_GLOBAL__N_121bessel_y1_kernel_cudaERNS_18TensorIteratorBaseEENKUlvE_clEvENKUlvE_clEvEUldE_St5arrayIPcLm2EEEEviT0_T1_,@function
_ZN2at6native29vectorized_elementwise_kernelILi16EZZZNS0_12_GLOBAL__N_121bessel_y1_kernel_cudaERNS_18TensorIteratorBaseEENKUlvE_clEvENKUlvE_clEvEUldE_St5arrayIPcLm2EEEEviT0_T1_: ; @_ZN2at6native29vectorized_elementwise_kernelILi16EZZZNS0_12_GLOBAL__N_121bessel_y1_kernel_cudaERNS_18TensorIteratorBaseEENKUlvE_clEvENKUlvE_clEvEUldE_St5arrayIPcLm2EEEEviT0_T1_
; %bb.0:
	s_mov_b32 s28, s2
	s_load_dword s2, s[0:1], 0x0
	s_load_dwordx4 s[36:39], s[0:1], 0x8
	s_lshl_b32 s0, s28, 10
	v_mov_b32_e32 v40, v0
	s_mov_b32 s32, 0
	s_waitcnt lgkmcnt(0)
	s_sub_i32 s29, s2, s0
	s_cmpk_gt_i32 s29, 0x3ff
	s_mov_b64 s[0:1], -1
	s_cbranch_scc1 .LBB2_3
; %bb.1:
	s_andn2_b64 vcc, exec, s[0:1]
	s_cbranch_vccz .LBB2_4
.LBB2_2:
	s_endpgm
.LBB2_3:
	s_getpc_b64 s[0:1]
	s_add_u32 s0, s0, _ZN2at6native25elementwise_kernel_helperILb0EZZZNS0_12_GLOBAL__N_121bessel_y1_kernel_cudaERNS_18TensorIteratorBaseEENKUlvE_clEvENKUlvE_clEvEUldE_NS0_6memory8policies10vectorizedILi4ESt5arrayIPcLm2EELi4EEEEEvT0_T1_@rel32@lo+4
	s_addc_u32 s1, s1, _ZN2at6native25elementwise_kernel_helperILb0EZZZNS0_12_GLOBAL__N_121bessel_y1_kernel_cudaERNS_18TensorIteratorBaseEENKUlvE_clEvENKUlvE_clEvEUldE_NS0_6memory8policies10vectorizedILi4ESt5arrayIPcLm2EELi4EEEEEvT0_T1_@rel32@hi+12
	s_mov_b32 s12, s28
	v_mov_b32_e32 v31, v40
	v_mov_b32_e32 v0, s36
	;; [unrolled: 1-line block ×5, first 2 shown]
	s_swappc_b64 s[30:31], s[0:1]
	s_cbranch_execnz .LBB2_2
.LBB2_4:
	s_getpc_b64 s[0:1]
	s_add_u32 s0, s0, _ZN2at6native25elementwise_kernel_helperILb0EZZZNS0_12_GLOBAL__N_121bessel_y1_kernel_cudaERNS_18TensorIteratorBaseEENKUlvE_clEvENKUlvE_clEvEUldE_NS0_6memory8policies11unroll_baseILi256ESt5arrayIPcLm2EE23TrivialOffsetCalculatorILi1EjESF_NS8_15LoadWithoutCastENS8_16StoreWithoutCastELi4ELi1EEEEEvT0_T1_@rel32@lo+4
	s_addc_u32 s1, s1, _ZN2at6native25elementwise_kernel_helperILb0EZZZNS0_12_GLOBAL__N_121bessel_y1_kernel_cudaERNS_18TensorIteratorBaseEENKUlvE_clEvENKUlvE_clEvEUldE_NS0_6memory8policies11unroll_baseILi256ESt5arrayIPcLm2EE23TrivialOffsetCalculatorILi1EjESF_NS8_15LoadWithoutCastENS8_16StoreWithoutCastELi4ELi1EEEEEvT0_T1_@rel32@hi+12
	s_mov_b32 s12, s28
	v_mov_b32_e32 v31, v40
	v_mov_b32_e32 v0, s36
	;; [unrolled: 1-line block ×6, first 2 shown]
	s_swappc_b64 s[30:31], s[0:1]
	s_endpgm
	.section	.rodata,"a",@progbits
	.p2align	6, 0x0
	.amdhsa_kernel _ZN2at6native29vectorized_elementwise_kernelILi16EZZZNS0_12_GLOBAL__N_121bessel_y1_kernel_cudaERNS_18TensorIteratorBaseEENKUlvE_clEvENKUlvE_clEvEUldE_St5arrayIPcLm2EEEEviT0_T1_
		.amdhsa_group_segment_fixed_size 0
		.amdhsa_private_segment_fixed_size 0
		.amdhsa_kernarg_size 24
		.amdhsa_user_sgpr_count 2
		.amdhsa_user_sgpr_dispatch_ptr 0
		.amdhsa_user_sgpr_queue_ptr 0
		.amdhsa_user_sgpr_kernarg_segment_ptr 1
		.amdhsa_user_sgpr_dispatch_id 0
		.amdhsa_user_sgpr_kernarg_preload_length 0
		.amdhsa_user_sgpr_kernarg_preload_offset 0
		.amdhsa_user_sgpr_private_segment_size 0
		.amdhsa_uses_dynamic_stack 0
		.amdhsa_enable_private_segment 0
		.amdhsa_system_sgpr_workgroup_id_x 1
		.amdhsa_system_sgpr_workgroup_id_y 0
		.amdhsa_system_sgpr_workgroup_id_z 0
		.amdhsa_system_sgpr_workgroup_info 0
		.amdhsa_system_vgpr_workitem_id 0
		.amdhsa_next_free_vgpr 68
		.amdhsa_next_free_sgpr 41
		.amdhsa_accum_offset 68
		.amdhsa_reserve_vcc 1
		.amdhsa_float_round_mode_32 0
		.amdhsa_float_round_mode_16_64 0
		.amdhsa_float_denorm_mode_32 3
		.amdhsa_float_denorm_mode_16_64 3
		.amdhsa_dx10_clamp 1
		.amdhsa_ieee_mode 1
		.amdhsa_fp16_overflow 0
		.amdhsa_tg_split 0
		.amdhsa_exception_fp_ieee_invalid_op 0
		.amdhsa_exception_fp_denorm_src 0
		.amdhsa_exception_fp_ieee_div_zero 0
		.amdhsa_exception_fp_ieee_overflow 0
		.amdhsa_exception_fp_ieee_underflow 0
		.amdhsa_exception_fp_ieee_inexact 0
		.amdhsa_exception_int_div_zero 0
	.end_amdhsa_kernel
	.section	.text._ZN2at6native29vectorized_elementwise_kernelILi16EZZZNS0_12_GLOBAL__N_121bessel_y1_kernel_cudaERNS_18TensorIteratorBaseEENKUlvE_clEvENKUlvE_clEvEUldE_St5arrayIPcLm2EEEEviT0_T1_,"axG",@progbits,_ZN2at6native29vectorized_elementwise_kernelILi16EZZZNS0_12_GLOBAL__N_121bessel_y1_kernel_cudaERNS_18TensorIteratorBaseEENKUlvE_clEvENKUlvE_clEvEUldE_St5arrayIPcLm2EEEEviT0_T1_,comdat
.Lfunc_end2:
	.size	_ZN2at6native29vectorized_elementwise_kernelILi16EZZZNS0_12_GLOBAL__N_121bessel_y1_kernel_cudaERNS_18TensorIteratorBaseEENKUlvE_clEvENKUlvE_clEvEUldE_St5arrayIPcLm2EEEEviT0_T1_, .Lfunc_end2-_ZN2at6native29vectorized_elementwise_kernelILi16EZZZNS0_12_GLOBAL__N_121bessel_y1_kernel_cudaERNS_18TensorIteratorBaseEENKUlvE_clEvENKUlvE_clEvEUldE_St5arrayIPcLm2EEEEviT0_T1_
                                        ; -- End function
	.set _ZN2at6native29vectorized_elementwise_kernelILi16EZZZNS0_12_GLOBAL__N_121bessel_y1_kernel_cudaERNS_18TensorIteratorBaseEENKUlvE_clEvENKUlvE_clEvEUldE_St5arrayIPcLm2EEEEviT0_T1_.num_vgpr, max(41, .L_ZN2at6native25elementwise_kernel_helperILb0EZZZNS0_12_GLOBAL__N_121bessel_y1_kernel_cudaERNS_18TensorIteratorBaseEENKUlvE_clEvENKUlvE_clEvEUldE_NS0_6memory8policies10vectorizedILi4ESt5arrayIPcLm2EELi4EEEEEvT0_T1_.num_vgpr, .L_ZN2at6native25elementwise_kernel_helperILb0EZZZNS0_12_GLOBAL__N_121bessel_y1_kernel_cudaERNS_18TensorIteratorBaseEENKUlvE_clEvENKUlvE_clEvEUldE_NS0_6memory8policies11unroll_baseILi256ESt5arrayIPcLm2EE23TrivialOffsetCalculatorILi1EjESF_NS8_15LoadWithoutCastENS8_16StoreWithoutCastELi4ELi1EEEEEvT0_T1_.num_vgpr)
	.set _ZN2at6native29vectorized_elementwise_kernelILi16EZZZNS0_12_GLOBAL__N_121bessel_y1_kernel_cudaERNS_18TensorIteratorBaseEENKUlvE_clEvENKUlvE_clEvEUldE_St5arrayIPcLm2EEEEviT0_T1_.num_agpr, max(0, .L_ZN2at6native25elementwise_kernel_helperILb0EZZZNS0_12_GLOBAL__N_121bessel_y1_kernel_cudaERNS_18TensorIteratorBaseEENKUlvE_clEvENKUlvE_clEvEUldE_NS0_6memory8policies10vectorizedILi4ESt5arrayIPcLm2EELi4EEEEEvT0_T1_.num_agpr, .L_ZN2at6native25elementwise_kernel_helperILb0EZZZNS0_12_GLOBAL__N_121bessel_y1_kernel_cudaERNS_18TensorIteratorBaseEENKUlvE_clEvENKUlvE_clEvEUldE_NS0_6memory8policies11unroll_baseILi256ESt5arrayIPcLm2EE23TrivialOffsetCalculatorILi1EjESF_NS8_15LoadWithoutCastENS8_16StoreWithoutCastELi4ELi1EEEEEvT0_T1_.num_agpr)
	.set _ZN2at6native29vectorized_elementwise_kernelILi16EZZZNS0_12_GLOBAL__N_121bessel_y1_kernel_cudaERNS_18TensorIteratorBaseEENKUlvE_clEvENKUlvE_clEvEUldE_St5arrayIPcLm2EEEEviT0_T1_.numbered_sgpr, max(40, .L_ZN2at6native25elementwise_kernel_helperILb0EZZZNS0_12_GLOBAL__N_121bessel_y1_kernel_cudaERNS_18TensorIteratorBaseEENKUlvE_clEvENKUlvE_clEvEUldE_NS0_6memory8policies10vectorizedILi4ESt5arrayIPcLm2EELi4EEEEEvT0_T1_.numbered_sgpr, .L_ZN2at6native25elementwise_kernel_helperILb0EZZZNS0_12_GLOBAL__N_121bessel_y1_kernel_cudaERNS_18TensorIteratorBaseEENKUlvE_clEvENKUlvE_clEvEUldE_NS0_6memory8policies11unroll_baseILi256ESt5arrayIPcLm2EE23TrivialOffsetCalculatorILi1EjESF_NS8_15LoadWithoutCastENS8_16StoreWithoutCastELi4ELi1EEEEEvT0_T1_.numbered_sgpr)
	.set _ZN2at6native29vectorized_elementwise_kernelILi16EZZZNS0_12_GLOBAL__N_121bessel_y1_kernel_cudaERNS_18TensorIteratorBaseEENKUlvE_clEvENKUlvE_clEvEUldE_St5arrayIPcLm2EEEEviT0_T1_.num_named_barrier, max(0, .L_ZN2at6native25elementwise_kernel_helperILb0EZZZNS0_12_GLOBAL__N_121bessel_y1_kernel_cudaERNS_18TensorIteratorBaseEENKUlvE_clEvENKUlvE_clEvEUldE_NS0_6memory8policies10vectorizedILi4ESt5arrayIPcLm2EELi4EEEEEvT0_T1_.num_named_barrier, .L_ZN2at6native25elementwise_kernel_helperILb0EZZZNS0_12_GLOBAL__N_121bessel_y1_kernel_cudaERNS_18TensorIteratorBaseEENKUlvE_clEvENKUlvE_clEvEUldE_NS0_6memory8policies11unroll_baseILi256ESt5arrayIPcLm2EE23TrivialOffsetCalculatorILi1EjESF_NS8_15LoadWithoutCastENS8_16StoreWithoutCastELi4ELi1EEEEEvT0_T1_.num_named_barrier)
	.set _ZN2at6native29vectorized_elementwise_kernelILi16EZZZNS0_12_GLOBAL__N_121bessel_y1_kernel_cudaERNS_18TensorIteratorBaseEENKUlvE_clEvENKUlvE_clEvEUldE_St5arrayIPcLm2EEEEviT0_T1_.private_seg_size, 0+max(.L_ZN2at6native25elementwise_kernel_helperILb0EZZZNS0_12_GLOBAL__N_121bessel_y1_kernel_cudaERNS_18TensorIteratorBaseEENKUlvE_clEvENKUlvE_clEvEUldE_NS0_6memory8policies10vectorizedILi4ESt5arrayIPcLm2EELi4EEEEEvT0_T1_.private_seg_size, .L_ZN2at6native25elementwise_kernel_helperILb0EZZZNS0_12_GLOBAL__N_121bessel_y1_kernel_cudaERNS_18TensorIteratorBaseEENKUlvE_clEvENKUlvE_clEvEUldE_NS0_6memory8policies11unroll_baseILi256ESt5arrayIPcLm2EE23TrivialOffsetCalculatorILi1EjESF_NS8_15LoadWithoutCastENS8_16StoreWithoutCastELi4ELi1EEEEEvT0_T1_.private_seg_size)
	.set _ZN2at6native29vectorized_elementwise_kernelILi16EZZZNS0_12_GLOBAL__N_121bessel_y1_kernel_cudaERNS_18TensorIteratorBaseEENKUlvE_clEvENKUlvE_clEvEUldE_St5arrayIPcLm2EEEEviT0_T1_.uses_vcc, or(1, .L_ZN2at6native25elementwise_kernel_helperILb0EZZZNS0_12_GLOBAL__N_121bessel_y1_kernel_cudaERNS_18TensorIteratorBaseEENKUlvE_clEvENKUlvE_clEvEUldE_NS0_6memory8policies10vectorizedILi4ESt5arrayIPcLm2EELi4EEEEEvT0_T1_.uses_vcc, .L_ZN2at6native25elementwise_kernel_helperILb0EZZZNS0_12_GLOBAL__N_121bessel_y1_kernel_cudaERNS_18TensorIteratorBaseEENKUlvE_clEvENKUlvE_clEvEUldE_NS0_6memory8policies11unroll_baseILi256ESt5arrayIPcLm2EE23TrivialOffsetCalculatorILi1EjESF_NS8_15LoadWithoutCastENS8_16StoreWithoutCastELi4ELi1EEEEEvT0_T1_.uses_vcc)
	.set _ZN2at6native29vectorized_elementwise_kernelILi16EZZZNS0_12_GLOBAL__N_121bessel_y1_kernel_cudaERNS_18TensorIteratorBaseEENKUlvE_clEvENKUlvE_clEvEUldE_St5arrayIPcLm2EEEEviT0_T1_.uses_flat_scratch, or(0, .L_ZN2at6native25elementwise_kernel_helperILb0EZZZNS0_12_GLOBAL__N_121bessel_y1_kernel_cudaERNS_18TensorIteratorBaseEENKUlvE_clEvENKUlvE_clEvEUldE_NS0_6memory8policies10vectorizedILi4ESt5arrayIPcLm2EELi4EEEEEvT0_T1_.uses_flat_scratch, .L_ZN2at6native25elementwise_kernel_helperILb0EZZZNS0_12_GLOBAL__N_121bessel_y1_kernel_cudaERNS_18TensorIteratorBaseEENKUlvE_clEvENKUlvE_clEvEUldE_NS0_6memory8policies11unroll_baseILi256ESt5arrayIPcLm2EE23TrivialOffsetCalculatorILi1EjESF_NS8_15LoadWithoutCastENS8_16StoreWithoutCastELi4ELi1EEEEEvT0_T1_.uses_flat_scratch)
	.set _ZN2at6native29vectorized_elementwise_kernelILi16EZZZNS0_12_GLOBAL__N_121bessel_y1_kernel_cudaERNS_18TensorIteratorBaseEENKUlvE_clEvENKUlvE_clEvEUldE_St5arrayIPcLm2EEEEviT0_T1_.has_dyn_sized_stack, or(0, .L_ZN2at6native25elementwise_kernel_helperILb0EZZZNS0_12_GLOBAL__N_121bessel_y1_kernel_cudaERNS_18TensorIteratorBaseEENKUlvE_clEvENKUlvE_clEvEUldE_NS0_6memory8policies10vectorizedILi4ESt5arrayIPcLm2EELi4EEEEEvT0_T1_.has_dyn_sized_stack, .L_ZN2at6native25elementwise_kernel_helperILb0EZZZNS0_12_GLOBAL__N_121bessel_y1_kernel_cudaERNS_18TensorIteratorBaseEENKUlvE_clEvENKUlvE_clEvEUldE_NS0_6memory8policies11unroll_baseILi256ESt5arrayIPcLm2EE23TrivialOffsetCalculatorILi1EjESF_NS8_15LoadWithoutCastENS8_16StoreWithoutCastELi4ELi1EEEEEvT0_T1_.has_dyn_sized_stack)
	.set _ZN2at6native29vectorized_elementwise_kernelILi16EZZZNS0_12_GLOBAL__N_121bessel_y1_kernel_cudaERNS_18TensorIteratorBaseEENKUlvE_clEvENKUlvE_clEvEUldE_St5arrayIPcLm2EEEEviT0_T1_.has_recursion, or(0, .L_ZN2at6native25elementwise_kernel_helperILb0EZZZNS0_12_GLOBAL__N_121bessel_y1_kernel_cudaERNS_18TensorIteratorBaseEENKUlvE_clEvENKUlvE_clEvEUldE_NS0_6memory8policies10vectorizedILi4ESt5arrayIPcLm2EELi4EEEEEvT0_T1_.has_recursion, .L_ZN2at6native25elementwise_kernel_helperILb0EZZZNS0_12_GLOBAL__N_121bessel_y1_kernel_cudaERNS_18TensorIteratorBaseEENKUlvE_clEvENKUlvE_clEvEUldE_NS0_6memory8policies11unroll_baseILi256ESt5arrayIPcLm2EE23TrivialOffsetCalculatorILi1EjESF_NS8_15LoadWithoutCastENS8_16StoreWithoutCastELi4ELi1EEEEEvT0_T1_.has_recursion)
	.set _ZN2at6native29vectorized_elementwise_kernelILi16EZZZNS0_12_GLOBAL__N_121bessel_y1_kernel_cudaERNS_18TensorIteratorBaseEENKUlvE_clEvENKUlvE_clEvEUldE_St5arrayIPcLm2EEEEviT0_T1_.has_indirect_call, or(0, .L_ZN2at6native25elementwise_kernel_helperILb0EZZZNS0_12_GLOBAL__N_121bessel_y1_kernel_cudaERNS_18TensorIteratorBaseEENKUlvE_clEvENKUlvE_clEvEUldE_NS0_6memory8policies10vectorizedILi4ESt5arrayIPcLm2EELi4EEEEEvT0_T1_.has_indirect_call, .L_ZN2at6native25elementwise_kernel_helperILb0EZZZNS0_12_GLOBAL__N_121bessel_y1_kernel_cudaERNS_18TensorIteratorBaseEENKUlvE_clEvENKUlvE_clEvEUldE_NS0_6memory8policies11unroll_baseILi256ESt5arrayIPcLm2EE23TrivialOffsetCalculatorILi1EjESF_NS8_15LoadWithoutCastENS8_16StoreWithoutCastELi4ELi1EEEEEvT0_T1_.has_indirect_call)
	.section	.AMDGPU.csdata,"",@progbits
; Kernel info:
; codeLenInByte = 172
; TotalNumSgprs: 47
; NumVgprs: 68
; NumAgprs: 0
; TotalNumVgprs: 68
; ScratchSize: 0
; MemoryBound: 0
; FloatMode: 240
; IeeeMode: 1
; LDSByteSize: 0 bytes/workgroup (compile time only)
; SGPRBlocks: 5
; VGPRBlocks: 8
; NumSGPRsForWavesPerEU: 47
; NumVGPRsForWavesPerEU: 68
; AccumOffset: 68
; Occupancy: 7
; WaveLimiterHint : 0
; COMPUTE_PGM_RSRC2:SCRATCH_EN: 0
; COMPUTE_PGM_RSRC2:USER_SGPR: 2
; COMPUTE_PGM_RSRC2:TRAP_HANDLER: 0
; COMPUTE_PGM_RSRC2:TGID_X_EN: 1
; COMPUTE_PGM_RSRC2:TGID_Y_EN: 0
; COMPUTE_PGM_RSRC2:TGID_Z_EN: 0
; COMPUTE_PGM_RSRC2:TIDIG_COMP_CNT: 0
; COMPUTE_PGM_RSRC3_GFX90A:ACCUM_OFFSET: 16
; COMPUTE_PGM_RSRC3_GFX90A:TG_SPLIT: 0
	.section	.text._ZN2at6native29vectorized_elementwise_kernelILi8EZZZNS0_12_GLOBAL__N_121bessel_y1_kernel_cudaERNS_18TensorIteratorBaseEENKUlvE_clEvENKUlvE_clEvEUldE_St5arrayIPcLm2EEEEviT0_T1_,"axG",@progbits,_ZN2at6native29vectorized_elementwise_kernelILi8EZZZNS0_12_GLOBAL__N_121bessel_y1_kernel_cudaERNS_18TensorIteratorBaseEENKUlvE_clEvENKUlvE_clEvEUldE_St5arrayIPcLm2EEEEviT0_T1_,comdat
	.globl	_ZN2at6native29vectorized_elementwise_kernelILi8EZZZNS0_12_GLOBAL__N_121bessel_y1_kernel_cudaERNS_18TensorIteratorBaseEENKUlvE_clEvENKUlvE_clEvEUldE_St5arrayIPcLm2EEEEviT0_T1_ ; -- Begin function _ZN2at6native29vectorized_elementwise_kernelILi8EZZZNS0_12_GLOBAL__N_121bessel_y1_kernel_cudaERNS_18TensorIteratorBaseEENKUlvE_clEvENKUlvE_clEvEUldE_St5arrayIPcLm2EEEEviT0_T1_
	.p2align	8
	.type	_ZN2at6native29vectorized_elementwise_kernelILi8EZZZNS0_12_GLOBAL__N_121bessel_y1_kernel_cudaERNS_18TensorIteratorBaseEENKUlvE_clEvENKUlvE_clEvEUldE_St5arrayIPcLm2EEEEviT0_T1_,@function
_ZN2at6native29vectorized_elementwise_kernelILi8EZZZNS0_12_GLOBAL__N_121bessel_y1_kernel_cudaERNS_18TensorIteratorBaseEENKUlvE_clEvENKUlvE_clEvEUldE_St5arrayIPcLm2EEEEviT0_T1_: ; @_ZN2at6native29vectorized_elementwise_kernelILi8EZZZNS0_12_GLOBAL__N_121bessel_y1_kernel_cudaERNS_18TensorIteratorBaseEENKUlvE_clEvENKUlvE_clEvEUldE_St5arrayIPcLm2EEEEviT0_T1_
; %bb.0:
	s_mov_b32 s28, s2
	s_load_dword s2, s[0:1], 0x0
	s_load_dwordx4 s[36:39], s[0:1], 0x8
	s_lshl_b32 s0, s28, 10
	v_mov_b32_e32 v40, v0
	s_mov_b32 s32, 0
	s_waitcnt lgkmcnt(0)
	s_sub_i32 s29, s2, s0
	s_cmpk_gt_i32 s29, 0x3ff
	s_mov_b64 s[0:1], -1
	s_cbranch_scc1 .LBB3_3
; %bb.1:
	s_andn2_b64 vcc, exec, s[0:1]
	s_cbranch_vccz .LBB3_4
.LBB3_2:
	s_endpgm
.LBB3_3:
	s_getpc_b64 s[0:1]
	s_add_u32 s0, s0, _ZN2at6native25elementwise_kernel_helperILb0EZZZNS0_12_GLOBAL__N_121bessel_y1_kernel_cudaERNS_18TensorIteratorBaseEENKUlvE_clEvENKUlvE_clEvEUldE_NS0_6memory8policies10vectorizedILi4ESt5arrayIPcLm2EELi4EEEEEvT0_T1_@rel32@lo+4
	s_addc_u32 s1, s1, _ZN2at6native25elementwise_kernel_helperILb0EZZZNS0_12_GLOBAL__N_121bessel_y1_kernel_cudaERNS_18TensorIteratorBaseEENKUlvE_clEvENKUlvE_clEvEUldE_NS0_6memory8policies10vectorizedILi4ESt5arrayIPcLm2EELi4EEEEEvT0_T1_@rel32@hi+12
	s_mov_b32 s12, s28
	v_mov_b32_e32 v31, v40
	v_mov_b32_e32 v0, s36
	;; [unrolled: 1-line block ×5, first 2 shown]
	s_swappc_b64 s[30:31], s[0:1]
	s_cbranch_execnz .LBB3_2
.LBB3_4:
	s_getpc_b64 s[0:1]
	s_add_u32 s0, s0, _ZN2at6native25elementwise_kernel_helperILb0EZZZNS0_12_GLOBAL__N_121bessel_y1_kernel_cudaERNS_18TensorIteratorBaseEENKUlvE_clEvENKUlvE_clEvEUldE_NS0_6memory8policies11unroll_baseILi256ESt5arrayIPcLm2EE23TrivialOffsetCalculatorILi1EjESF_NS8_15LoadWithoutCastENS8_16StoreWithoutCastELi4ELi1EEEEEvT0_T1_@rel32@lo+4
	s_addc_u32 s1, s1, _ZN2at6native25elementwise_kernel_helperILb0EZZZNS0_12_GLOBAL__N_121bessel_y1_kernel_cudaERNS_18TensorIteratorBaseEENKUlvE_clEvENKUlvE_clEvEUldE_NS0_6memory8policies11unroll_baseILi256ESt5arrayIPcLm2EE23TrivialOffsetCalculatorILi1EjESF_NS8_15LoadWithoutCastENS8_16StoreWithoutCastELi4ELi1EEEEEvT0_T1_@rel32@hi+12
	s_mov_b32 s12, s28
	v_mov_b32_e32 v31, v40
	v_mov_b32_e32 v0, s36
	v_mov_b32_e32 v1, s37
	v_mov_b32_e32 v2, s38
	v_mov_b32_e32 v3, s39
	v_mov_b32_e32 v4, s29
	s_swappc_b64 s[30:31], s[0:1]
	s_endpgm
	.section	.rodata,"a",@progbits
	.p2align	6, 0x0
	.amdhsa_kernel _ZN2at6native29vectorized_elementwise_kernelILi8EZZZNS0_12_GLOBAL__N_121bessel_y1_kernel_cudaERNS_18TensorIteratorBaseEENKUlvE_clEvENKUlvE_clEvEUldE_St5arrayIPcLm2EEEEviT0_T1_
		.amdhsa_group_segment_fixed_size 0
		.amdhsa_private_segment_fixed_size 0
		.amdhsa_kernarg_size 24
		.amdhsa_user_sgpr_count 2
		.amdhsa_user_sgpr_dispatch_ptr 0
		.amdhsa_user_sgpr_queue_ptr 0
		.amdhsa_user_sgpr_kernarg_segment_ptr 1
		.amdhsa_user_sgpr_dispatch_id 0
		.amdhsa_user_sgpr_kernarg_preload_length 0
		.amdhsa_user_sgpr_kernarg_preload_offset 0
		.amdhsa_user_sgpr_private_segment_size 0
		.amdhsa_uses_dynamic_stack 0
		.amdhsa_enable_private_segment 0
		.amdhsa_system_sgpr_workgroup_id_x 1
		.amdhsa_system_sgpr_workgroup_id_y 0
		.amdhsa_system_sgpr_workgroup_id_z 0
		.amdhsa_system_sgpr_workgroup_info 0
		.amdhsa_system_vgpr_workitem_id 0
		.amdhsa_next_free_vgpr 68
		.amdhsa_next_free_sgpr 41
		.amdhsa_accum_offset 68
		.amdhsa_reserve_vcc 1
		.amdhsa_float_round_mode_32 0
		.amdhsa_float_round_mode_16_64 0
		.amdhsa_float_denorm_mode_32 3
		.amdhsa_float_denorm_mode_16_64 3
		.amdhsa_dx10_clamp 1
		.amdhsa_ieee_mode 1
		.amdhsa_fp16_overflow 0
		.amdhsa_tg_split 0
		.amdhsa_exception_fp_ieee_invalid_op 0
		.amdhsa_exception_fp_denorm_src 0
		.amdhsa_exception_fp_ieee_div_zero 0
		.amdhsa_exception_fp_ieee_overflow 0
		.amdhsa_exception_fp_ieee_underflow 0
		.amdhsa_exception_fp_ieee_inexact 0
		.amdhsa_exception_int_div_zero 0
	.end_amdhsa_kernel
	.section	.text._ZN2at6native29vectorized_elementwise_kernelILi8EZZZNS0_12_GLOBAL__N_121bessel_y1_kernel_cudaERNS_18TensorIteratorBaseEENKUlvE_clEvENKUlvE_clEvEUldE_St5arrayIPcLm2EEEEviT0_T1_,"axG",@progbits,_ZN2at6native29vectorized_elementwise_kernelILi8EZZZNS0_12_GLOBAL__N_121bessel_y1_kernel_cudaERNS_18TensorIteratorBaseEENKUlvE_clEvENKUlvE_clEvEUldE_St5arrayIPcLm2EEEEviT0_T1_,comdat
.Lfunc_end3:
	.size	_ZN2at6native29vectorized_elementwise_kernelILi8EZZZNS0_12_GLOBAL__N_121bessel_y1_kernel_cudaERNS_18TensorIteratorBaseEENKUlvE_clEvENKUlvE_clEvEUldE_St5arrayIPcLm2EEEEviT0_T1_, .Lfunc_end3-_ZN2at6native29vectorized_elementwise_kernelILi8EZZZNS0_12_GLOBAL__N_121bessel_y1_kernel_cudaERNS_18TensorIteratorBaseEENKUlvE_clEvENKUlvE_clEvEUldE_St5arrayIPcLm2EEEEviT0_T1_
                                        ; -- End function
	.set _ZN2at6native29vectorized_elementwise_kernelILi8EZZZNS0_12_GLOBAL__N_121bessel_y1_kernel_cudaERNS_18TensorIteratorBaseEENKUlvE_clEvENKUlvE_clEvEUldE_St5arrayIPcLm2EEEEviT0_T1_.num_vgpr, max(41, .L_ZN2at6native25elementwise_kernel_helperILb0EZZZNS0_12_GLOBAL__N_121bessel_y1_kernel_cudaERNS_18TensorIteratorBaseEENKUlvE_clEvENKUlvE_clEvEUldE_NS0_6memory8policies10vectorizedILi4ESt5arrayIPcLm2EELi4EEEEEvT0_T1_.num_vgpr, .L_ZN2at6native25elementwise_kernel_helperILb0EZZZNS0_12_GLOBAL__N_121bessel_y1_kernel_cudaERNS_18TensorIteratorBaseEENKUlvE_clEvENKUlvE_clEvEUldE_NS0_6memory8policies11unroll_baseILi256ESt5arrayIPcLm2EE23TrivialOffsetCalculatorILi1EjESF_NS8_15LoadWithoutCastENS8_16StoreWithoutCastELi4ELi1EEEEEvT0_T1_.num_vgpr)
	.set _ZN2at6native29vectorized_elementwise_kernelILi8EZZZNS0_12_GLOBAL__N_121bessel_y1_kernel_cudaERNS_18TensorIteratorBaseEENKUlvE_clEvENKUlvE_clEvEUldE_St5arrayIPcLm2EEEEviT0_T1_.num_agpr, max(0, .L_ZN2at6native25elementwise_kernel_helperILb0EZZZNS0_12_GLOBAL__N_121bessel_y1_kernel_cudaERNS_18TensorIteratorBaseEENKUlvE_clEvENKUlvE_clEvEUldE_NS0_6memory8policies10vectorizedILi4ESt5arrayIPcLm2EELi4EEEEEvT0_T1_.num_agpr, .L_ZN2at6native25elementwise_kernel_helperILb0EZZZNS0_12_GLOBAL__N_121bessel_y1_kernel_cudaERNS_18TensorIteratorBaseEENKUlvE_clEvENKUlvE_clEvEUldE_NS0_6memory8policies11unroll_baseILi256ESt5arrayIPcLm2EE23TrivialOffsetCalculatorILi1EjESF_NS8_15LoadWithoutCastENS8_16StoreWithoutCastELi4ELi1EEEEEvT0_T1_.num_agpr)
	.set _ZN2at6native29vectorized_elementwise_kernelILi8EZZZNS0_12_GLOBAL__N_121bessel_y1_kernel_cudaERNS_18TensorIteratorBaseEENKUlvE_clEvENKUlvE_clEvEUldE_St5arrayIPcLm2EEEEviT0_T1_.numbered_sgpr, max(40, .L_ZN2at6native25elementwise_kernel_helperILb0EZZZNS0_12_GLOBAL__N_121bessel_y1_kernel_cudaERNS_18TensorIteratorBaseEENKUlvE_clEvENKUlvE_clEvEUldE_NS0_6memory8policies10vectorizedILi4ESt5arrayIPcLm2EELi4EEEEEvT0_T1_.numbered_sgpr, .L_ZN2at6native25elementwise_kernel_helperILb0EZZZNS0_12_GLOBAL__N_121bessel_y1_kernel_cudaERNS_18TensorIteratorBaseEENKUlvE_clEvENKUlvE_clEvEUldE_NS0_6memory8policies11unroll_baseILi256ESt5arrayIPcLm2EE23TrivialOffsetCalculatorILi1EjESF_NS8_15LoadWithoutCastENS8_16StoreWithoutCastELi4ELi1EEEEEvT0_T1_.numbered_sgpr)
	.set _ZN2at6native29vectorized_elementwise_kernelILi8EZZZNS0_12_GLOBAL__N_121bessel_y1_kernel_cudaERNS_18TensorIteratorBaseEENKUlvE_clEvENKUlvE_clEvEUldE_St5arrayIPcLm2EEEEviT0_T1_.num_named_barrier, max(0, .L_ZN2at6native25elementwise_kernel_helperILb0EZZZNS0_12_GLOBAL__N_121bessel_y1_kernel_cudaERNS_18TensorIteratorBaseEENKUlvE_clEvENKUlvE_clEvEUldE_NS0_6memory8policies10vectorizedILi4ESt5arrayIPcLm2EELi4EEEEEvT0_T1_.num_named_barrier, .L_ZN2at6native25elementwise_kernel_helperILb0EZZZNS0_12_GLOBAL__N_121bessel_y1_kernel_cudaERNS_18TensorIteratorBaseEENKUlvE_clEvENKUlvE_clEvEUldE_NS0_6memory8policies11unroll_baseILi256ESt5arrayIPcLm2EE23TrivialOffsetCalculatorILi1EjESF_NS8_15LoadWithoutCastENS8_16StoreWithoutCastELi4ELi1EEEEEvT0_T1_.num_named_barrier)
	.set _ZN2at6native29vectorized_elementwise_kernelILi8EZZZNS0_12_GLOBAL__N_121bessel_y1_kernel_cudaERNS_18TensorIteratorBaseEENKUlvE_clEvENKUlvE_clEvEUldE_St5arrayIPcLm2EEEEviT0_T1_.private_seg_size, 0+max(.L_ZN2at6native25elementwise_kernel_helperILb0EZZZNS0_12_GLOBAL__N_121bessel_y1_kernel_cudaERNS_18TensorIteratorBaseEENKUlvE_clEvENKUlvE_clEvEUldE_NS0_6memory8policies10vectorizedILi4ESt5arrayIPcLm2EELi4EEEEEvT0_T1_.private_seg_size, .L_ZN2at6native25elementwise_kernel_helperILb0EZZZNS0_12_GLOBAL__N_121bessel_y1_kernel_cudaERNS_18TensorIteratorBaseEENKUlvE_clEvENKUlvE_clEvEUldE_NS0_6memory8policies11unroll_baseILi256ESt5arrayIPcLm2EE23TrivialOffsetCalculatorILi1EjESF_NS8_15LoadWithoutCastENS8_16StoreWithoutCastELi4ELi1EEEEEvT0_T1_.private_seg_size)
	.set _ZN2at6native29vectorized_elementwise_kernelILi8EZZZNS0_12_GLOBAL__N_121bessel_y1_kernel_cudaERNS_18TensorIteratorBaseEENKUlvE_clEvENKUlvE_clEvEUldE_St5arrayIPcLm2EEEEviT0_T1_.uses_vcc, or(1, .L_ZN2at6native25elementwise_kernel_helperILb0EZZZNS0_12_GLOBAL__N_121bessel_y1_kernel_cudaERNS_18TensorIteratorBaseEENKUlvE_clEvENKUlvE_clEvEUldE_NS0_6memory8policies10vectorizedILi4ESt5arrayIPcLm2EELi4EEEEEvT0_T1_.uses_vcc, .L_ZN2at6native25elementwise_kernel_helperILb0EZZZNS0_12_GLOBAL__N_121bessel_y1_kernel_cudaERNS_18TensorIteratorBaseEENKUlvE_clEvENKUlvE_clEvEUldE_NS0_6memory8policies11unroll_baseILi256ESt5arrayIPcLm2EE23TrivialOffsetCalculatorILi1EjESF_NS8_15LoadWithoutCastENS8_16StoreWithoutCastELi4ELi1EEEEEvT0_T1_.uses_vcc)
	.set _ZN2at6native29vectorized_elementwise_kernelILi8EZZZNS0_12_GLOBAL__N_121bessel_y1_kernel_cudaERNS_18TensorIteratorBaseEENKUlvE_clEvENKUlvE_clEvEUldE_St5arrayIPcLm2EEEEviT0_T1_.uses_flat_scratch, or(0, .L_ZN2at6native25elementwise_kernel_helperILb0EZZZNS0_12_GLOBAL__N_121bessel_y1_kernel_cudaERNS_18TensorIteratorBaseEENKUlvE_clEvENKUlvE_clEvEUldE_NS0_6memory8policies10vectorizedILi4ESt5arrayIPcLm2EELi4EEEEEvT0_T1_.uses_flat_scratch, .L_ZN2at6native25elementwise_kernel_helperILb0EZZZNS0_12_GLOBAL__N_121bessel_y1_kernel_cudaERNS_18TensorIteratorBaseEENKUlvE_clEvENKUlvE_clEvEUldE_NS0_6memory8policies11unroll_baseILi256ESt5arrayIPcLm2EE23TrivialOffsetCalculatorILi1EjESF_NS8_15LoadWithoutCastENS8_16StoreWithoutCastELi4ELi1EEEEEvT0_T1_.uses_flat_scratch)
	.set _ZN2at6native29vectorized_elementwise_kernelILi8EZZZNS0_12_GLOBAL__N_121bessel_y1_kernel_cudaERNS_18TensorIteratorBaseEENKUlvE_clEvENKUlvE_clEvEUldE_St5arrayIPcLm2EEEEviT0_T1_.has_dyn_sized_stack, or(0, .L_ZN2at6native25elementwise_kernel_helperILb0EZZZNS0_12_GLOBAL__N_121bessel_y1_kernel_cudaERNS_18TensorIteratorBaseEENKUlvE_clEvENKUlvE_clEvEUldE_NS0_6memory8policies10vectorizedILi4ESt5arrayIPcLm2EELi4EEEEEvT0_T1_.has_dyn_sized_stack, .L_ZN2at6native25elementwise_kernel_helperILb0EZZZNS0_12_GLOBAL__N_121bessel_y1_kernel_cudaERNS_18TensorIteratorBaseEENKUlvE_clEvENKUlvE_clEvEUldE_NS0_6memory8policies11unroll_baseILi256ESt5arrayIPcLm2EE23TrivialOffsetCalculatorILi1EjESF_NS8_15LoadWithoutCastENS8_16StoreWithoutCastELi4ELi1EEEEEvT0_T1_.has_dyn_sized_stack)
	.set _ZN2at6native29vectorized_elementwise_kernelILi8EZZZNS0_12_GLOBAL__N_121bessel_y1_kernel_cudaERNS_18TensorIteratorBaseEENKUlvE_clEvENKUlvE_clEvEUldE_St5arrayIPcLm2EEEEviT0_T1_.has_recursion, or(0, .L_ZN2at6native25elementwise_kernel_helperILb0EZZZNS0_12_GLOBAL__N_121bessel_y1_kernel_cudaERNS_18TensorIteratorBaseEENKUlvE_clEvENKUlvE_clEvEUldE_NS0_6memory8policies10vectorizedILi4ESt5arrayIPcLm2EELi4EEEEEvT0_T1_.has_recursion, .L_ZN2at6native25elementwise_kernel_helperILb0EZZZNS0_12_GLOBAL__N_121bessel_y1_kernel_cudaERNS_18TensorIteratorBaseEENKUlvE_clEvENKUlvE_clEvEUldE_NS0_6memory8policies11unroll_baseILi256ESt5arrayIPcLm2EE23TrivialOffsetCalculatorILi1EjESF_NS8_15LoadWithoutCastENS8_16StoreWithoutCastELi4ELi1EEEEEvT0_T1_.has_recursion)
	.set _ZN2at6native29vectorized_elementwise_kernelILi8EZZZNS0_12_GLOBAL__N_121bessel_y1_kernel_cudaERNS_18TensorIteratorBaseEENKUlvE_clEvENKUlvE_clEvEUldE_St5arrayIPcLm2EEEEviT0_T1_.has_indirect_call, or(0, .L_ZN2at6native25elementwise_kernel_helperILb0EZZZNS0_12_GLOBAL__N_121bessel_y1_kernel_cudaERNS_18TensorIteratorBaseEENKUlvE_clEvENKUlvE_clEvEUldE_NS0_6memory8policies10vectorizedILi4ESt5arrayIPcLm2EELi4EEEEEvT0_T1_.has_indirect_call, .L_ZN2at6native25elementwise_kernel_helperILb0EZZZNS0_12_GLOBAL__N_121bessel_y1_kernel_cudaERNS_18TensorIteratorBaseEENKUlvE_clEvENKUlvE_clEvEUldE_NS0_6memory8policies11unroll_baseILi256ESt5arrayIPcLm2EE23TrivialOffsetCalculatorILi1EjESF_NS8_15LoadWithoutCastENS8_16StoreWithoutCastELi4ELi1EEEEEvT0_T1_.has_indirect_call)
	.section	.AMDGPU.csdata,"",@progbits
; Kernel info:
; codeLenInByte = 172
; TotalNumSgprs: 47
; NumVgprs: 68
; NumAgprs: 0
; TotalNumVgprs: 68
; ScratchSize: 0
; MemoryBound: 0
; FloatMode: 240
; IeeeMode: 1
; LDSByteSize: 0 bytes/workgroup (compile time only)
; SGPRBlocks: 5
; VGPRBlocks: 8
; NumSGPRsForWavesPerEU: 47
; NumVGPRsForWavesPerEU: 68
; AccumOffset: 68
; Occupancy: 7
; WaveLimiterHint : 0
; COMPUTE_PGM_RSRC2:SCRATCH_EN: 0
; COMPUTE_PGM_RSRC2:USER_SGPR: 2
; COMPUTE_PGM_RSRC2:TRAP_HANDLER: 0
; COMPUTE_PGM_RSRC2:TGID_X_EN: 1
; COMPUTE_PGM_RSRC2:TGID_Y_EN: 0
; COMPUTE_PGM_RSRC2:TGID_Z_EN: 0
; COMPUTE_PGM_RSRC2:TIDIG_COMP_CNT: 0
; COMPUTE_PGM_RSRC3_GFX90A:ACCUM_OFFSET: 16
; COMPUTE_PGM_RSRC3_GFX90A:TG_SPLIT: 0
	.section	.text._ZN2at6native29vectorized_elementwise_kernelILi4EZZZNS0_12_GLOBAL__N_121bessel_y1_kernel_cudaERNS_18TensorIteratorBaseEENKUlvE_clEvENKUlvE_clEvEUldE_St5arrayIPcLm2EEEEviT0_T1_,"axG",@progbits,_ZN2at6native29vectorized_elementwise_kernelILi4EZZZNS0_12_GLOBAL__N_121bessel_y1_kernel_cudaERNS_18TensorIteratorBaseEENKUlvE_clEvENKUlvE_clEvEUldE_St5arrayIPcLm2EEEEviT0_T1_,comdat
	.globl	_ZN2at6native29vectorized_elementwise_kernelILi4EZZZNS0_12_GLOBAL__N_121bessel_y1_kernel_cudaERNS_18TensorIteratorBaseEENKUlvE_clEvENKUlvE_clEvEUldE_St5arrayIPcLm2EEEEviT0_T1_ ; -- Begin function _ZN2at6native29vectorized_elementwise_kernelILi4EZZZNS0_12_GLOBAL__N_121bessel_y1_kernel_cudaERNS_18TensorIteratorBaseEENKUlvE_clEvENKUlvE_clEvEUldE_St5arrayIPcLm2EEEEviT0_T1_
	.p2align	8
	.type	_ZN2at6native29vectorized_elementwise_kernelILi4EZZZNS0_12_GLOBAL__N_121bessel_y1_kernel_cudaERNS_18TensorIteratorBaseEENKUlvE_clEvENKUlvE_clEvEUldE_St5arrayIPcLm2EEEEviT0_T1_,@function
_ZN2at6native29vectorized_elementwise_kernelILi4EZZZNS0_12_GLOBAL__N_121bessel_y1_kernel_cudaERNS_18TensorIteratorBaseEENKUlvE_clEvENKUlvE_clEvEUldE_St5arrayIPcLm2EEEEviT0_T1_: ; @_ZN2at6native29vectorized_elementwise_kernelILi4EZZZNS0_12_GLOBAL__N_121bessel_y1_kernel_cudaERNS_18TensorIteratorBaseEENKUlvE_clEvENKUlvE_clEvEUldE_St5arrayIPcLm2EEEEviT0_T1_
; %bb.0:
	s_mov_b32 s28, s2
	s_load_dword s2, s[0:1], 0x0
	s_load_dwordx4 s[36:39], s[0:1], 0x8
	s_lshl_b32 s0, s28, 10
	v_mov_b32_e32 v40, v0
	s_mov_b32 s32, 0
	s_waitcnt lgkmcnt(0)
	s_sub_i32 s29, s2, s0
	s_cmpk_gt_i32 s29, 0x3ff
	s_mov_b64 s[0:1], -1
	s_cbranch_scc1 .LBB4_3
; %bb.1:
	s_andn2_b64 vcc, exec, s[0:1]
	s_cbranch_vccz .LBB4_4
.LBB4_2:
	s_endpgm
.LBB4_3:
	s_getpc_b64 s[0:1]
	s_add_u32 s0, s0, _ZN2at6native25elementwise_kernel_helperILb0EZZZNS0_12_GLOBAL__N_121bessel_y1_kernel_cudaERNS_18TensorIteratorBaseEENKUlvE_clEvENKUlvE_clEvEUldE_NS0_6memory8policies10vectorizedILi4ESt5arrayIPcLm2EELi4EEEEEvT0_T1_@rel32@lo+4
	s_addc_u32 s1, s1, _ZN2at6native25elementwise_kernel_helperILb0EZZZNS0_12_GLOBAL__N_121bessel_y1_kernel_cudaERNS_18TensorIteratorBaseEENKUlvE_clEvENKUlvE_clEvEUldE_NS0_6memory8policies10vectorizedILi4ESt5arrayIPcLm2EELi4EEEEEvT0_T1_@rel32@hi+12
	s_mov_b32 s12, s28
	v_mov_b32_e32 v31, v40
	v_mov_b32_e32 v0, s36
	;; [unrolled: 1-line block ×5, first 2 shown]
	s_swappc_b64 s[30:31], s[0:1]
	s_cbranch_execnz .LBB4_2
.LBB4_4:
	s_getpc_b64 s[0:1]
	s_add_u32 s0, s0, _ZN2at6native25elementwise_kernel_helperILb0EZZZNS0_12_GLOBAL__N_121bessel_y1_kernel_cudaERNS_18TensorIteratorBaseEENKUlvE_clEvENKUlvE_clEvEUldE_NS0_6memory8policies11unroll_baseILi256ESt5arrayIPcLm2EE23TrivialOffsetCalculatorILi1EjESF_NS8_15LoadWithoutCastENS8_16StoreWithoutCastELi4ELi1EEEEEvT0_T1_@rel32@lo+4
	s_addc_u32 s1, s1, _ZN2at6native25elementwise_kernel_helperILb0EZZZNS0_12_GLOBAL__N_121bessel_y1_kernel_cudaERNS_18TensorIteratorBaseEENKUlvE_clEvENKUlvE_clEvEUldE_NS0_6memory8policies11unroll_baseILi256ESt5arrayIPcLm2EE23TrivialOffsetCalculatorILi1EjESF_NS8_15LoadWithoutCastENS8_16StoreWithoutCastELi4ELi1EEEEEvT0_T1_@rel32@hi+12
	s_mov_b32 s12, s28
	v_mov_b32_e32 v31, v40
	v_mov_b32_e32 v0, s36
	v_mov_b32_e32 v1, s37
	v_mov_b32_e32 v2, s38
	v_mov_b32_e32 v3, s39
	v_mov_b32_e32 v4, s29
	s_swappc_b64 s[30:31], s[0:1]
	s_endpgm
	.section	.rodata,"a",@progbits
	.p2align	6, 0x0
	.amdhsa_kernel _ZN2at6native29vectorized_elementwise_kernelILi4EZZZNS0_12_GLOBAL__N_121bessel_y1_kernel_cudaERNS_18TensorIteratorBaseEENKUlvE_clEvENKUlvE_clEvEUldE_St5arrayIPcLm2EEEEviT0_T1_
		.amdhsa_group_segment_fixed_size 0
		.amdhsa_private_segment_fixed_size 0
		.amdhsa_kernarg_size 24
		.amdhsa_user_sgpr_count 2
		.amdhsa_user_sgpr_dispatch_ptr 0
		.amdhsa_user_sgpr_queue_ptr 0
		.amdhsa_user_sgpr_kernarg_segment_ptr 1
		.amdhsa_user_sgpr_dispatch_id 0
		.amdhsa_user_sgpr_kernarg_preload_length 0
		.amdhsa_user_sgpr_kernarg_preload_offset 0
		.amdhsa_user_sgpr_private_segment_size 0
		.amdhsa_uses_dynamic_stack 0
		.amdhsa_enable_private_segment 0
		.amdhsa_system_sgpr_workgroup_id_x 1
		.amdhsa_system_sgpr_workgroup_id_y 0
		.amdhsa_system_sgpr_workgroup_id_z 0
		.amdhsa_system_sgpr_workgroup_info 0
		.amdhsa_system_vgpr_workitem_id 0
		.amdhsa_next_free_vgpr 68
		.amdhsa_next_free_sgpr 41
		.amdhsa_accum_offset 68
		.amdhsa_reserve_vcc 1
		.amdhsa_float_round_mode_32 0
		.amdhsa_float_round_mode_16_64 0
		.amdhsa_float_denorm_mode_32 3
		.amdhsa_float_denorm_mode_16_64 3
		.amdhsa_dx10_clamp 1
		.amdhsa_ieee_mode 1
		.amdhsa_fp16_overflow 0
		.amdhsa_tg_split 0
		.amdhsa_exception_fp_ieee_invalid_op 0
		.amdhsa_exception_fp_denorm_src 0
		.amdhsa_exception_fp_ieee_div_zero 0
		.amdhsa_exception_fp_ieee_overflow 0
		.amdhsa_exception_fp_ieee_underflow 0
		.amdhsa_exception_fp_ieee_inexact 0
		.amdhsa_exception_int_div_zero 0
	.end_amdhsa_kernel
	.section	.text._ZN2at6native29vectorized_elementwise_kernelILi4EZZZNS0_12_GLOBAL__N_121bessel_y1_kernel_cudaERNS_18TensorIteratorBaseEENKUlvE_clEvENKUlvE_clEvEUldE_St5arrayIPcLm2EEEEviT0_T1_,"axG",@progbits,_ZN2at6native29vectorized_elementwise_kernelILi4EZZZNS0_12_GLOBAL__N_121bessel_y1_kernel_cudaERNS_18TensorIteratorBaseEENKUlvE_clEvENKUlvE_clEvEUldE_St5arrayIPcLm2EEEEviT0_T1_,comdat
.Lfunc_end4:
	.size	_ZN2at6native29vectorized_elementwise_kernelILi4EZZZNS0_12_GLOBAL__N_121bessel_y1_kernel_cudaERNS_18TensorIteratorBaseEENKUlvE_clEvENKUlvE_clEvEUldE_St5arrayIPcLm2EEEEviT0_T1_, .Lfunc_end4-_ZN2at6native29vectorized_elementwise_kernelILi4EZZZNS0_12_GLOBAL__N_121bessel_y1_kernel_cudaERNS_18TensorIteratorBaseEENKUlvE_clEvENKUlvE_clEvEUldE_St5arrayIPcLm2EEEEviT0_T1_
                                        ; -- End function
	.set _ZN2at6native29vectorized_elementwise_kernelILi4EZZZNS0_12_GLOBAL__N_121bessel_y1_kernel_cudaERNS_18TensorIteratorBaseEENKUlvE_clEvENKUlvE_clEvEUldE_St5arrayIPcLm2EEEEviT0_T1_.num_vgpr, max(41, .L_ZN2at6native25elementwise_kernel_helperILb0EZZZNS0_12_GLOBAL__N_121bessel_y1_kernel_cudaERNS_18TensorIteratorBaseEENKUlvE_clEvENKUlvE_clEvEUldE_NS0_6memory8policies10vectorizedILi4ESt5arrayIPcLm2EELi4EEEEEvT0_T1_.num_vgpr, .L_ZN2at6native25elementwise_kernel_helperILb0EZZZNS0_12_GLOBAL__N_121bessel_y1_kernel_cudaERNS_18TensorIteratorBaseEENKUlvE_clEvENKUlvE_clEvEUldE_NS0_6memory8policies11unroll_baseILi256ESt5arrayIPcLm2EE23TrivialOffsetCalculatorILi1EjESF_NS8_15LoadWithoutCastENS8_16StoreWithoutCastELi4ELi1EEEEEvT0_T1_.num_vgpr)
	.set _ZN2at6native29vectorized_elementwise_kernelILi4EZZZNS0_12_GLOBAL__N_121bessel_y1_kernel_cudaERNS_18TensorIteratorBaseEENKUlvE_clEvENKUlvE_clEvEUldE_St5arrayIPcLm2EEEEviT0_T1_.num_agpr, max(0, .L_ZN2at6native25elementwise_kernel_helperILb0EZZZNS0_12_GLOBAL__N_121bessel_y1_kernel_cudaERNS_18TensorIteratorBaseEENKUlvE_clEvENKUlvE_clEvEUldE_NS0_6memory8policies10vectorizedILi4ESt5arrayIPcLm2EELi4EEEEEvT0_T1_.num_agpr, .L_ZN2at6native25elementwise_kernel_helperILb0EZZZNS0_12_GLOBAL__N_121bessel_y1_kernel_cudaERNS_18TensorIteratorBaseEENKUlvE_clEvENKUlvE_clEvEUldE_NS0_6memory8policies11unroll_baseILi256ESt5arrayIPcLm2EE23TrivialOffsetCalculatorILi1EjESF_NS8_15LoadWithoutCastENS8_16StoreWithoutCastELi4ELi1EEEEEvT0_T1_.num_agpr)
	.set _ZN2at6native29vectorized_elementwise_kernelILi4EZZZNS0_12_GLOBAL__N_121bessel_y1_kernel_cudaERNS_18TensorIteratorBaseEENKUlvE_clEvENKUlvE_clEvEUldE_St5arrayIPcLm2EEEEviT0_T1_.numbered_sgpr, max(40, .L_ZN2at6native25elementwise_kernel_helperILb0EZZZNS0_12_GLOBAL__N_121bessel_y1_kernel_cudaERNS_18TensorIteratorBaseEENKUlvE_clEvENKUlvE_clEvEUldE_NS0_6memory8policies10vectorizedILi4ESt5arrayIPcLm2EELi4EEEEEvT0_T1_.numbered_sgpr, .L_ZN2at6native25elementwise_kernel_helperILb0EZZZNS0_12_GLOBAL__N_121bessel_y1_kernel_cudaERNS_18TensorIteratorBaseEENKUlvE_clEvENKUlvE_clEvEUldE_NS0_6memory8policies11unroll_baseILi256ESt5arrayIPcLm2EE23TrivialOffsetCalculatorILi1EjESF_NS8_15LoadWithoutCastENS8_16StoreWithoutCastELi4ELi1EEEEEvT0_T1_.numbered_sgpr)
	.set _ZN2at6native29vectorized_elementwise_kernelILi4EZZZNS0_12_GLOBAL__N_121bessel_y1_kernel_cudaERNS_18TensorIteratorBaseEENKUlvE_clEvENKUlvE_clEvEUldE_St5arrayIPcLm2EEEEviT0_T1_.num_named_barrier, max(0, .L_ZN2at6native25elementwise_kernel_helperILb0EZZZNS0_12_GLOBAL__N_121bessel_y1_kernel_cudaERNS_18TensorIteratorBaseEENKUlvE_clEvENKUlvE_clEvEUldE_NS0_6memory8policies10vectorizedILi4ESt5arrayIPcLm2EELi4EEEEEvT0_T1_.num_named_barrier, .L_ZN2at6native25elementwise_kernel_helperILb0EZZZNS0_12_GLOBAL__N_121bessel_y1_kernel_cudaERNS_18TensorIteratorBaseEENKUlvE_clEvENKUlvE_clEvEUldE_NS0_6memory8policies11unroll_baseILi256ESt5arrayIPcLm2EE23TrivialOffsetCalculatorILi1EjESF_NS8_15LoadWithoutCastENS8_16StoreWithoutCastELi4ELi1EEEEEvT0_T1_.num_named_barrier)
	.set _ZN2at6native29vectorized_elementwise_kernelILi4EZZZNS0_12_GLOBAL__N_121bessel_y1_kernel_cudaERNS_18TensorIteratorBaseEENKUlvE_clEvENKUlvE_clEvEUldE_St5arrayIPcLm2EEEEviT0_T1_.private_seg_size, 0+max(.L_ZN2at6native25elementwise_kernel_helperILb0EZZZNS0_12_GLOBAL__N_121bessel_y1_kernel_cudaERNS_18TensorIteratorBaseEENKUlvE_clEvENKUlvE_clEvEUldE_NS0_6memory8policies10vectorizedILi4ESt5arrayIPcLm2EELi4EEEEEvT0_T1_.private_seg_size, .L_ZN2at6native25elementwise_kernel_helperILb0EZZZNS0_12_GLOBAL__N_121bessel_y1_kernel_cudaERNS_18TensorIteratorBaseEENKUlvE_clEvENKUlvE_clEvEUldE_NS0_6memory8policies11unroll_baseILi256ESt5arrayIPcLm2EE23TrivialOffsetCalculatorILi1EjESF_NS8_15LoadWithoutCastENS8_16StoreWithoutCastELi4ELi1EEEEEvT0_T1_.private_seg_size)
	.set _ZN2at6native29vectorized_elementwise_kernelILi4EZZZNS0_12_GLOBAL__N_121bessel_y1_kernel_cudaERNS_18TensorIteratorBaseEENKUlvE_clEvENKUlvE_clEvEUldE_St5arrayIPcLm2EEEEviT0_T1_.uses_vcc, or(1, .L_ZN2at6native25elementwise_kernel_helperILb0EZZZNS0_12_GLOBAL__N_121bessel_y1_kernel_cudaERNS_18TensorIteratorBaseEENKUlvE_clEvENKUlvE_clEvEUldE_NS0_6memory8policies10vectorizedILi4ESt5arrayIPcLm2EELi4EEEEEvT0_T1_.uses_vcc, .L_ZN2at6native25elementwise_kernel_helperILb0EZZZNS0_12_GLOBAL__N_121bessel_y1_kernel_cudaERNS_18TensorIteratorBaseEENKUlvE_clEvENKUlvE_clEvEUldE_NS0_6memory8policies11unroll_baseILi256ESt5arrayIPcLm2EE23TrivialOffsetCalculatorILi1EjESF_NS8_15LoadWithoutCastENS8_16StoreWithoutCastELi4ELi1EEEEEvT0_T1_.uses_vcc)
	.set _ZN2at6native29vectorized_elementwise_kernelILi4EZZZNS0_12_GLOBAL__N_121bessel_y1_kernel_cudaERNS_18TensorIteratorBaseEENKUlvE_clEvENKUlvE_clEvEUldE_St5arrayIPcLm2EEEEviT0_T1_.uses_flat_scratch, or(0, .L_ZN2at6native25elementwise_kernel_helperILb0EZZZNS0_12_GLOBAL__N_121bessel_y1_kernel_cudaERNS_18TensorIteratorBaseEENKUlvE_clEvENKUlvE_clEvEUldE_NS0_6memory8policies10vectorizedILi4ESt5arrayIPcLm2EELi4EEEEEvT0_T1_.uses_flat_scratch, .L_ZN2at6native25elementwise_kernel_helperILb0EZZZNS0_12_GLOBAL__N_121bessel_y1_kernel_cudaERNS_18TensorIteratorBaseEENKUlvE_clEvENKUlvE_clEvEUldE_NS0_6memory8policies11unroll_baseILi256ESt5arrayIPcLm2EE23TrivialOffsetCalculatorILi1EjESF_NS8_15LoadWithoutCastENS8_16StoreWithoutCastELi4ELi1EEEEEvT0_T1_.uses_flat_scratch)
	.set _ZN2at6native29vectorized_elementwise_kernelILi4EZZZNS0_12_GLOBAL__N_121bessel_y1_kernel_cudaERNS_18TensorIteratorBaseEENKUlvE_clEvENKUlvE_clEvEUldE_St5arrayIPcLm2EEEEviT0_T1_.has_dyn_sized_stack, or(0, .L_ZN2at6native25elementwise_kernel_helperILb0EZZZNS0_12_GLOBAL__N_121bessel_y1_kernel_cudaERNS_18TensorIteratorBaseEENKUlvE_clEvENKUlvE_clEvEUldE_NS0_6memory8policies10vectorizedILi4ESt5arrayIPcLm2EELi4EEEEEvT0_T1_.has_dyn_sized_stack, .L_ZN2at6native25elementwise_kernel_helperILb0EZZZNS0_12_GLOBAL__N_121bessel_y1_kernel_cudaERNS_18TensorIteratorBaseEENKUlvE_clEvENKUlvE_clEvEUldE_NS0_6memory8policies11unroll_baseILi256ESt5arrayIPcLm2EE23TrivialOffsetCalculatorILi1EjESF_NS8_15LoadWithoutCastENS8_16StoreWithoutCastELi4ELi1EEEEEvT0_T1_.has_dyn_sized_stack)
	.set _ZN2at6native29vectorized_elementwise_kernelILi4EZZZNS0_12_GLOBAL__N_121bessel_y1_kernel_cudaERNS_18TensorIteratorBaseEENKUlvE_clEvENKUlvE_clEvEUldE_St5arrayIPcLm2EEEEviT0_T1_.has_recursion, or(0, .L_ZN2at6native25elementwise_kernel_helperILb0EZZZNS0_12_GLOBAL__N_121bessel_y1_kernel_cudaERNS_18TensorIteratorBaseEENKUlvE_clEvENKUlvE_clEvEUldE_NS0_6memory8policies10vectorizedILi4ESt5arrayIPcLm2EELi4EEEEEvT0_T1_.has_recursion, .L_ZN2at6native25elementwise_kernel_helperILb0EZZZNS0_12_GLOBAL__N_121bessel_y1_kernel_cudaERNS_18TensorIteratorBaseEENKUlvE_clEvENKUlvE_clEvEUldE_NS0_6memory8policies11unroll_baseILi256ESt5arrayIPcLm2EE23TrivialOffsetCalculatorILi1EjESF_NS8_15LoadWithoutCastENS8_16StoreWithoutCastELi4ELi1EEEEEvT0_T1_.has_recursion)
	.set _ZN2at6native29vectorized_elementwise_kernelILi4EZZZNS0_12_GLOBAL__N_121bessel_y1_kernel_cudaERNS_18TensorIteratorBaseEENKUlvE_clEvENKUlvE_clEvEUldE_St5arrayIPcLm2EEEEviT0_T1_.has_indirect_call, or(0, .L_ZN2at6native25elementwise_kernel_helperILb0EZZZNS0_12_GLOBAL__N_121bessel_y1_kernel_cudaERNS_18TensorIteratorBaseEENKUlvE_clEvENKUlvE_clEvEUldE_NS0_6memory8policies10vectorizedILi4ESt5arrayIPcLm2EELi4EEEEEvT0_T1_.has_indirect_call, .L_ZN2at6native25elementwise_kernel_helperILb0EZZZNS0_12_GLOBAL__N_121bessel_y1_kernel_cudaERNS_18TensorIteratorBaseEENKUlvE_clEvENKUlvE_clEvEUldE_NS0_6memory8policies11unroll_baseILi256ESt5arrayIPcLm2EE23TrivialOffsetCalculatorILi1EjESF_NS8_15LoadWithoutCastENS8_16StoreWithoutCastELi4ELi1EEEEEvT0_T1_.has_indirect_call)
	.section	.AMDGPU.csdata,"",@progbits
; Kernel info:
; codeLenInByte = 172
; TotalNumSgprs: 47
; NumVgprs: 68
; NumAgprs: 0
; TotalNumVgprs: 68
; ScratchSize: 0
; MemoryBound: 0
; FloatMode: 240
; IeeeMode: 1
; LDSByteSize: 0 bytes/workgroup (compile time only)
; SGPRBlocks: 5
; VGPRBlocks: 8
; NumSGPRsForWavesPerEU: 47
; NumVGPRsForWavesPerEU: 68
; AccumOffset: 68
; Occupancy: 7
; WaveLimiterHint : 0
; COMPUTE_PGM_RSRC2:SCRATCH_EN: 0
; COMPUTE_PGM_RSRC2:USER_SGPR: 2
; COMPUTE_PGM_RSRC2:TRAP_HANDLER: 0
; COMPUTE_PGM_RSRC2:TGID_X_EN: 1
; COMPUTE_PGM_RSRC2:TGID_Y_EN: 0
; COMPUTE_PGM_RSRC2:TGID_Z_EN: 0
; COMPUTE_PGM_RSRC2:TIDIG_COMP_CNT: 0
; COMPUTE_PGM_RSRC3_GFX90A:ACCUM_OFFSET: 16
; COMPUTE_PGM_RSRC3_GFX90A:TG_SPLIT: 0
	.section	.text._ZN2at6native29vectorized_elementwise_kernelILi2EZZZNS0_12_GLOBAL__N_121bessel_y1_kernel_cudaERNS_18TensorIteratorBaseEENKUlvE_clEvENKUlvE_clEvEUldE_St5arrayIPcLm2EEEEviT0_T1_,"axG",@progbits,_ZN2at6native29vectorized_elementwise_kernelILi2EZZZNS0_12_GLOBAL__N_121bessel_y1_kernel_cudaERNS_18TensorIteratorBaseEENKUlvE_clEvENKUlvE_clEvEUldE_St5arrayIPcLm2EEEEviT0_T1_,comdat
	.globl	_ZN2at6native29vectorized_elementwise_kernelILi2EZZZNS0_12_GLOBAL__N_121bessel_y1_kernel_cudaERNS_18TensorIteratorBaseEENKUlvE_clEvENKUlvE_clEvEUldE_St5arrayIPcLm2EEEEviT0_T1_ ; -- Begin function _ZN2at6native29vectorized_elementwise_kernelILi2EZZZNS0_12_GLOBAL__N_121bessel_y1_kernel_cudaERNS_18TensorIteratorBaseEENKUlvE_clEvENKUlvE_clEvEUldE_St5arrayIPcLm2EEEEviT0_T1_
	.p2align	8
	.type	_ZN2at6native29vectorized_elementwise_kernelILi2EZZZNS0_12_GLOBAL__N_121bessel_y1_kernel_cudaERNS_18TensorIteratorBaseEENKUlvE_clEvENKUlvE_clEvEUldE_St5arrayIPcLm2EEEEviT0_T1_,@function
_ZN2at6native29vectorized_elementwise_kernelILi2EZZZNS0_12_GLOBAL__N_121bessel_y1_kernel_cudaERNS_18TensorIteratorBaseEENKUlvE_clEvENKUlvE_clEvEUldE_St5arrayIPcLm2EEEEviT0_T1_: ; @_ZN2at6native29vectorized_elementwise_kernelILi2EZZZNS0_12_GLOBAL__N_121bessel_y1_kernel_cudaERNS_18TensorIteratorBaseEENKUlvE_clEvENKUlvE_clEvEUldE_St5arrayIPcLm2EEEEviT0_T1_
; %bb.0:
	s_load_dword s3, s[0:1], 0x0
	s_load_dwordx4 s[4:7], s[0:1], 0x8
	s_lshl_b32 s0, s2, 10
	s_mov_b64 s[8:9], -1
	s_mov_b32 s32, 0
	s_waitcnt lgkmcnt(0)
	s_sub_i32 s3, s3, s0
	s_cmpk_gt_i32 s3, 0x3ff
	s_cbranch_scc0 .LBB5_10
; %bb.1:
	s_ashr_i32 s1, s0, 31
	s_lshl_b64 s[8:9], s[0:1], 3
	s_add_u32 s0, s6, s8
	s_addc_u32 s1, s7, s9
	v_mov_b32_e32 v15, 0
	v_lshlrev_b32_e32 v14, 4, v0
	v_lshl_add_u64 v[2:3], s[0:1], 0, v[14:15]
	v_add_co_u32_e32 v6, vcc, 0x1000, v2
	s_nop 1
	v_addc_co_u32_e32 v7, vcc, 0, v3, vcc
	global_load_dwordx4 v[8:11], v14, s[0:1]
	global_load_dwordx4 v[2:5], v[6:7], off
	s_mov_b32 s0, 0
	s_mov_b32 s1, 0x40140000
                                        ; implicit-def: $vgpr6_vgpr7
	s_waitcnt vmcnt(1)
	v_cmp_ge_f64_e32 vcc, s[0:1], v[8:9]
	s_and_saveexec_b64 s[0:1], vcc
	s_xor_b64 s[0:1], exec, s[0:1]
	s_cbranch_execz .LBB5_7
; %bb.2:
	v_mov_b32_e32 v6, 0
	v_cmp_neq_f64_e32 vcc, 0, v[8:9]
	v_mov_b32_e32 v7, 0xfff00000
	s_and_saveexec_b64 s[10:11], vcc
	s_cbranch_execz .LBB5_6
; %bb.3:
	v_mov_b32_e32 v6, 0
	v_cmp_nge_f64_e32 vcc, 0, v[8:9]
	v_mov_b32_e32 v7, 0x7ff80000
	s_and_saveexec_b64 s[12:13], vcc
	s_cbranch_execz .LBB5_5
; %bb.4:
	v_mul_f64 v[6:7], v[8:9], v[8:9]
	v_mov_b32_e32 v12, 0x62f9b6c5
	v_mov_b32_e32 v13, 0x41d2d2be
	v_fmac_f64_e32 v[12:13], 0, v[6:7]
	v_mov_b32_e32 v16, 0x58836521
	v_mov_b32_e32 v17, 0xc262d72d
	v_fmac_f64_e32 v[16:17], v[6:7], v[12:13]
	;; [unrolled: 3-line block ×14, first 2 shown]
	v_div_scale_f64 v[12:13], s[14:15], v[18:19], v[18:19], v[16:17]
	v_rcp_f64_e32 v[20:21], v[12:13]
	v_mov_b32_e32 v26, 0xd438c6b
	v_mov_b32_e32 v27, 0x425a52ba
	;; [unrolled: 1-line block ×3, first 2 shown]
	v_fma_f64 v[22:23], -v[12:13], v[20:21], 1.0
	v_fmac_f64_e32 v[20:21], v[20:21], v[22:23]
	v_fma_f64 v[22:23], -v[12:13], v[20:21], 1.0
	v_fmac_f64_e32 v[20:21], v[20:21], v[22:23]
	v_div_scale_f64 v[22:23], vcc, v[16:17], v[18:19], v[16:17]
	v_mul_f64 v[24:25], v[22:23], v[20:21]
	v_fma_f64 v[12:13], -v[12:13], v[24:25], v[22:23]
	v_mov_b32_e32 v22, 0x4cda4fc5
	v_mov_b32_e32 v23, 0xc1cad23c
	v_fmac_f64_e32 v[22:23], 0, v[6:7]
	v_fmac_f64_e32 v[26:27], v[6:7], v[22:23]
	v_mov_b32_e32 v22, 0xe6ccf175
	v_mov_b32_e32 v23, 0xc2d08a92
	v_fmac_f64_e32 v[22:23], v[6:7], v[26:27]
	v_mov_b32_e32 v26, 0x1b7086e7
	v_mov_b32_e32 v27, 0x408366b1
	v_fmac_f64_e32 v[26:27], 0, v[6:7]
	v_mov_b32_e32 v29, 0x410f5eda
	v_fmac_f64_e32 v[28:29], v[6:7], v[26:27]
	v_mov_b32_e32 v26, 0xdc92a1b1
	v_mov_b32_e32 v27, 0x4193e954
	v_fmac_f64_e32 v[26:27], v[6:7], v[28:29]
	v_mov_b32_e32 v28, 0x7befeac1
	v_mov_b32_e32 v29, 0x4214a13f
	v_fmac_f64_e32 v[28:29], v[6:7], v[26:27]
	v_mov_b32_e32 v26, 0x8076ffa8
	v_mov_b32_e32 v27, 0x429146fb
	v_fmac_f64_e32 v[26:27], v[6:7], v[28:29]
	v_mov_b32_e32 v28, 0x3eccf45f
	v_mov_b32_e32 v29, 0x43064b0a
	v_fmac_f64_e32 v[28:29], v[6:7], v[26:27]
	v_mov_b32_e32 v26, 0xf4653f81
	v_mov_b32_e32 v27, 0x4373e0bf
	v_fmac_f64_e32 v[26:27], v[6:7], v[28:29]
	v_mov_b32_e32 v28, 0x76702939
	v_mov_b32_e32 v29, 0x43d27795
	v_fmac_f64_e32 v[28:29], v[6:7], v[26:27]
	v_mov_b32_e32 v26, 0xa697c482
	v_mov_b32_e32 v27, 0x432a2b42
	v_fmac_f64_e32 v[26:27], v[6:7], v[22:23]
	v_div_scale_f64 v[6:7], s[14:15], v[28:29], v[28:29], v[26:27]
	v_rcp_f64_e32 v[22:23], v[6:7]
	v_div_fmas_f64 v[12:13], v[12:13], v[20:21], v[24:25]
	v_div_fixup_f64 v[12:13], v[12:13], v[18:19], v[16:17]
	s_mov_b32 s14, 0x55555555
	v_fma_f64 v[16:17], -v[6:7], v[22:23], 1.0
	v_fmac_f64_e32 v[22:23], v[22:23], v[16:17]
	v_fma_f64 v[16:17], -v[6:7], v[22:23], 1.0
	v_fmac_f64_e32 v[22:23], v[22:23], v[16:17]
	v_div_scale_f64 v[16:17], vcc, v[26:27], v[28:29], v[26:27]
	v_mul_f64 v[18:19], v[16:17], v[22:23]
	v_fma_f64 v[6:7], -v[6:7], v[18:19], v[16:17]
	v_mov_b32_e32 v16, 0x4189822c
	s_nop 0
	v_div_fmas_f64 v[6:7], v[6:7], v[22:23], v[18:19]
	v_div_fixup_f64 v[6:7], v[6:7], v[28:29], v[26:27]
	v_mov_b32_e32 v17, 0xc02d5d2b
	v_mul_f64 v[6:7], v[8:9], v[6:7]
	v_fmac_f64_e32 v[16:17], v[8:9], v[8:9]
	v_mul_f64 v[6:7], v[16:17], v[6:7]
	v_mov_b32_e32 v16, 0x6072a432
	v_mov_b32_e32 v17, 0xc0489bf6
	v_fmac_f64_e32 v[16:17], v[8:9], v[8:9]
	v_mul_f64 v[6:7], v[16:17], v[6:7]
	v_frexp_mant_f64_e32 v[16:17], v[8:9]
	s_mov_b32 s15, 0x3fe55555
	v_cmp_gt_f64_e32 vcc, s[14:15], v[16:17]
	s_mov_b32 s14, 0xbf559e2b
	s_mov_b32 s15, 0x3fc3ab76
	v_cndmask_b32_e64 v15, 0, 1, vcc
	v_ldexp_f64 v[16:17], v[16:17], v15
	v_add_f64 v[18:19], v[16:17], 1.0
	v_rcp_f64_e32 v[20:21], v[18:19]
	v_add_f64 v[24:25], v[18:19], -1.0
	v_add_f64 v[22:23], v[16:17], -1.0
	v_add_f64 v[16:17], v[16:17], -v[24:25]
	v_fma_f64 v[24:25], -v[18:19], v[20:21], 1.0
	v_fmac_f64_e32 v[20:21], v[24:25], v[20:21]
	v_fma_f64 v[24:25], -v[18:19], v[20:21], 1.0
	v_fmac_f64_e32 v[20:21], v[24:25], v[20:21]
	v_mul_f64 v[24:25], v[22:23], v[20:21]
	v_mul_f64 v[26:27], v[18:19], v[24:25]
	v_fma_f64 v[18:19], v[24:25], v[18:19], -v[26:27]
	v_fmac_f64_e32 v[18:19], v[24:25], v[16:17]
	v_add_f64 v[16:17], v[26:27], v[18:19]
	v_add_f64 v[28:29], v[22:23], -v[16:17]
	v_add_f64 v[26:27], v[16:17], -v[26:27]
	;; [unrolled: 1-line block ×5, first 2 shown]
	v_add_f64 v[16:17], v[18:19], v[16:17]
	v_add_f64 v[16:17], v[28:29], v[16:17]
	v_mul_f64 v[16:17], v[20:21], v[16:17]
	v_add_f64 v[18:19], v[24:25], v[16:17]
	v_add_f64 v[20:21], v[18:19], -v[24:25]
	v_add_f64 v[16:17], v[16:17], -v[20:21]
	v_mul_f64 v[20:21], v[18:19], v[18:19]
	v_mov_b32_e32 v22, 0x6b47b09a
	v_mov_b32_e32 v23, 0x3fc38538
	v_fmac_f64_e32 v[22:23], s[14:15], v[20:21]
	v_mov_b32_e32 v24, 0xd7f4df2e
	v_mov_b32_e32 v25, 0x3fc7474d
	v_fmac_f64_e32 v[24:25], v[20:21], v[22:23]
	;; [unrolled: 3-line block ×6, first 2 shown]
	v_ldexp_f64 v[22:23], v[18:19], 1
	v_mul_f64 v[18:19], v[18:19], v[20:21]
	v_mul_f64 v[18:19], v[18:19], v[24:25]
	v_add_f64 v[20:21], v[22:23], v[18:19]
	v_add_f64 v[22:23], v[20:21], -v[22:23]
	v_ldexp_f64 v[16:17], v[16:17], 1
	v_add_f64 v[18:19], v[18:19], -v[22:23]
	v_add_f64 v[16:17], v[16:17], v[18:19]
	v_frexp_exp_i32_f64_e32 v1, v[8:9]
	v_add_f64 v[18:19], v[20:21], v[16:17]
	v_subbrev_co_u32_e32 v1, vcc, 0, v1, vcc
	v_add_f64 v[20:21], v[18:19], -v[20:21]
	s_mov_b32 s14, 0xfefa39ef
	v_add_f64 v[16:17], v[16:17], -v[20:21]
	v_cvt_f64_i32_e32 v[20:21], v1
	s_mov_b32 s15, 0x3fe62e42
	v_mul_f64 v[22:23], v[20:21], s[14:15]
	v_fma_f64 v[24:25], v[20:21], s[14:15], -v[22:23]
	s_mov_b32 s14, 0x3b39803f
	s_mov_b32 s15, 0x3c7abc9e
	v_fmac_f64_e32 v[24:25], s[14:15], v[20:21]
	v_add_f64 v[20:21], v[22:23], v[24:25]
	v_add_f64 v[22:23], v[20:21], -v[22:23]
	v_add_f64 v[22:23], v[24:25], -v[22:23]
	v_add_f64 v[24:25], v[20:21], v[18:19]
	v_add_f64 v[26:27], v[24:25], -v[20:21]
	v_add_f64 v[28:29], v[24:25], -v[26:27]
	;; [unrolled: 1-line block ×4, first 2 shown]
	v_add_f64 v[18:19], v[18:19], v[20:21]
	v_add_f64 v[20:21], v[22:23], v[16:17]
	v_add_f64 v[26:27], v[20:21], -v[22:23]
	v_add_f64 v[28:29], v[20:21], -v[26:27]
	v_add_f64 v[18:19], v[20:21], v[18:19]
	v_add_f64 v[22:23], v[22:23], -v[28:29]
	v_add_f64 v[16:17], v[16:17], -v[26:27]
	v_add_f64 v[20:21], v[24:25], v[18:19]
	v_add_f64 v[16:17], v[16:17], v[22:23]
	v_add_f64 v[22:23], v[20:21], -v[24:25]
	v_div_scale_f64 v[24:25], s[14:15], v[8:9], v[8:9], -1.0
	v_rcp_f64_e32 v[26:27], v[24:25]
	v_add_f64 v[18:19], v[18:19], -v[22:23]
	v_add_f64 v[16:17], v[16:17], v[18:19]
	v_add_f64 v[16:17], v[20:21], v[16:17]
	v_fma_f64 v[18:19], -v[24:25], v[26:27], 1.0
	v_fmac_f64_e32 v[26:27], v[26:27], v[18:19]
	v_fma_f64 v[18:19], -v[24:25], v[26:27], 1.0
	v_fmac_f64_e32 v[26:27], v[26:27], v[18:19]
	v_div_scale_f64 v[18:19], vcc, -1.0, v[8:9], -1.0
	v_mul_f64 v[20:21], v[18:19], v[26:27]
	v_fma_f64 v[18:19], -v[24:25], v[20:21], v[18:19]
	s_mov_b32 s14, 0x6dc9c883
	s_nop 0
	v_div_fmas_f64 v[18:19], v[18:19], v[26:27], v[20:21]
	v_div_fixup_f64 v[18:19], v[18:19], v[8:9], -1.0
	v_fmac_f64_e32 v[18:19], v[6:7], v[16:17]
	s_mov_b32 s15, 0x3fe45f30
	v_mul_f64 v[6:7], v[18:19], s[14:15]
	v_fmac_f64_e32 v[6:7], v[8:9], v[12:13]
.LBB5_5:
	s_or_b64 exec, exec, s[12:13]
.LBB5_6:
	s_or_b64 exec, exec, s[10:11]
.LBB5_7:
	s_andn2_saveexec_b64 s[10:11], s[0:1]
	s_cbranch_execz .LBB5_19
; %bb.8:
	s_mov_b32 s0, 0x7f3321d2
	s_mov_b32 s1, 0xc002d97c
	v_add_f64 v[6:7], v[8:9], s[0:1]
	s_mov_b32 s0, 0
	s_mov_b32 s1, 0x41d00000
	v_cmp_nlt_f64_e64 s[12:13], |v[6:7]|, s[0:1]
	v_trig_preop_f64 v[26:27], |v[6:7]|, 0
	v_trig_preop_f64 v[24:25], |v[6:7]|, 1
	;; [unrolled: 1-line block ×3, first 2 shown]
                                        ; implicit-def: $vgpr1
                                        ; implicit-def: $vgpr12_vgpr13
                                        ; implicit-def: $vgpr16_vgpr17
	s_and_saveexec_b64 s[0:1], s[12:13]
	s_xor_b64 s[14:15], exec, s[0:1]
	s_cbranch_execz .LBB5_12
; %bb.9:
	s_mov_b32 s0, 0
	s_mov_b32 s1, 0x7b000000
	s_movk_i32 s16, 0xff80
	v_and_b32_e32 v1, 0x7fffffff, v7
	v_ldexp_f64 v[12:13], |v[6:7]|, s16
	v_cmp_ge_f64_e64 vcc, |v[6:7]|, s[0:1]
	s_mov_b32 s0, 0
	s_mov_b32 s1, 0x7ff00000
	v_cndmask_b32_e32 v13, v1, v13, vcc
	v_cndmask_b32_e32 v12, v6, v12, vcc
	v_mul_f64 v[18:19], v[26:27], v[12:13]
	v_mul_f64 v[16:17], v[24:25], v[12:13]
	v_fma_f64 v[20:21], v[26:27], v[12:13], -v[18:19]
	v_add_f64 v[28:29], v[16:17], v[20:21]
	v_add_f64 v[36:37], v[28:29], -v[16:17]
	v_add_f64 v[20:21], v[20:21], -v[36:37]
	;; [unrolled: 1-line block ×4, first 2 shown]
	v_add_f64 v[20:21], v[20:21], v[36:37]
	v_fma_f64 v[16:17], v[24:25], v[12:13], -v[16:17]
	v_mul_f64 v[36:37], v[22:23], v[12:13]
	v_add_f64 v[38:39], v[36:37], v[16:17]
	v_add_f64 v[30:31], v[18:19], v[28:29]
	;; [unrolled: 1-line block ×3, first 2 shown]
	v_ldexp_f64 v[32:33], v[30:31], -2
	v_add_f64 v[18:19], v[30:31], -v[18:19]
	v_add_f64 v[30:31], v[40:41], -v[38:39]
	;; [unrolled: 1-line block ×5, first 2 shown]
	v_add_f64 v[20:21], v[20:21], v[30:31]
	v_add_f64 v[30:31], v[38:39], -v[36:37]
	v_add_f64 v[16:17], v[16:17], -v[30:31]
	;; [unrolled: 1-line block ×5, first 2 shown]
	v_add_f64 v[16:17], v[16:17], v[30:31]
	v_fract_f64_e32 v[34:35], v[32:33]
	v_add_f64 v[28:29], v[18:19], v[40:41]
	v_add_f64 v[16:17], v[16:17], v[20:21]
	v_fma_f64 v[12:13], v[22:23], v[12:13], -v[36:37]
	v_add_f64 v[18:19], v[28:29], -v[18:19]
	v_add_f64 v[12:13], v[12:13], v[16:17]
	v_ldexp_f64 v[16:17], v[34:35], 2
	v_cmp_neq_f64_e64 vcc, |v[32:33]|, s[0:1]
	v_add_f64 v[18:19], v[40:41], -v[18:19]
	v_add_f64 v[12:13], v[18:19], v[12:13]
	v_cndmask_b32_e32 v17, 0, v17, vcc
	v_cndmask_b32_e32 v16, 0, v16, vcc
	v_add_f64 v[18:19], v[28:29], v[16:17]
	v_mov_b32_e32 v1, 0x40100000
	v_cmp_gt_f64_e32 vcc, 0, v[18:19]
	v_mov_b32_e32 v18, 0
	v_mov_b32_e32 v15, 0x3ff00000
	v_cndmask_b32_e32 v19, 0, v1, vcc
	v_add_f64 v[16:17], v[16:17], v[18:19]
	v_add_f64 v[20:21], v[28:29], v[16:17]
	v_cvt_i32_f64_e32 v1, v[20:21]
	v_cvt_f64_i32_e32 v[20:21], v1
	v_add_f64 v[16:17], v[16:17], -v[20:21]
	v_add_f64 v[20:21], v[28:29], v[16:17]
	v_add_f64 v[16:17], v[20:21], -v[16:17]
	v_cmp_le_f64_e32 vcc, 0.5, v[20:21]
	v_add_f64 v[16:17], v[28:29], -v[16:17]
	v_add_f64 v[12:13], v[12:13], v[16:17]
	v_cndmask_b32_e32 v19, 0, v15, vcc
	v_addc_co_u32_e64 v1, s[0:1], 0, v1, vcc
	v_add_f64 v[16:17], v[20:21], -v[18:19]
	v_add_f64 v[18:19], v[16:17], v[12:13]
	s_mov_b32 s0, 0x54442d18
	v_add_f64 v[16:17], v[18:19], -v[16:17]
	s_mov_b32 s1, 0x3ff921fb
	v_add_f64 v[12:13], v[12:13], -v[16:17]
	v_mul_f64 v[16:17], v[18:19], s[0:1]
	s_mov_b32 s16, 0x33145c07
	v_fma_f64 v[20:21], v[18:19], s[0:1], -v[16:17]
	s_mov_b32 s17, 0x3c91a626
	v_fmac_f64_e32 v[20:21], s[16:17], v[18:19]
	v_fmac_f64_e32 v[20:21], s[0:1], v[12:13]
	v_add_f64 v[12:13], v[16:17], v[20:21]
	v_add_f64 v[16:17], v[12:13], -v[16:17]
	v_add_f64 v[16:17], v[20:21], -v[16:17]
	s_andn2_saveexec_b64 s[0:1], s[14:15]
	s_cbranch_execz .LBB5_14
	s_branch .LBB5_13
.LBB5_10:
	s_and_b64 vcc, exec, s[8:9]
	s_cbranch_vccz .LBB5_68
; %bb.11:
	s_getpc_b64 s[0:1]
	s_add_u32 s0, s0, _ZN2at6native25elementwise_kernel_helperILb0EZZZNS0_12_GLOBAL__N_121bessel_y1_kernel_cudaERNS_18TensorIteratorBaseEENKUlvE_clEvENKUlvE_clEvEUldE_NS0_6memory8policies11unroll_baseILi256ESt5arrayIPcLm2EE23TrivialOffsetCalculatorILi1EjESF_NS8_15LoadWithoutCastENS8_16StoreWithoutCastELi4ELi1EEEEEvT0_T1_@rel32@lo+4
	s_addc_u32 s1, s1, _ZN2at6native25elementwise_kernel_helperILb0EZZZNS0_12_GLOBAL__N_121bessel_y1_kernel_cudaERNS_18TensorIteratorBaseEENKUlvE_clEvENKUlvE_clEvEUldE_NS0_6memory8policies11unroll_baseILi256ESt5arrayIPcLm2EE23TrivialOffsetCalculatorILi1EjESF_NS8_15LoadWithoutCastENS8_16StoreWithoutCastELi4ELi1EEEEEvT0_T1_@rel32@hi+12
	s_mov_b32 s12, s2
	v_mov_b32_e32 v31, v0
	v_mov_b32_e32 v0, s4
	;; [unrolled: 1-line block ×6, first 2 shown]
	s_swappc_b64 s[30:31], s[0:1]
	s_endpgm
.LBB5_12:
	s_andn2_saveexec_b64 s[0:1], s[14:15]
	s_cbranch_execz .LBB5_14
.LBB5_13:
	s_mov_b32 s14, 0x6dc9c883
	s_mov_b32 s15, 0x3fe45f30
	v_mul_f64 v[12:13], |v[6:7]|, s[14:15]
	s_mov_b32 s14, 0x54442d18
	v_rndne_f64_e32 v[18:19], v[12:13]
	s_mov_b32 s15, 0xbff921fb
	v_fma_f64 v[12:13], v[18:19], s[14:15], |v[6:7]|
	s_mov_b32 s15, 0xbc91a626
	s_mov_b32 s14, 0x33145c00
	v_mul_f64 v[20:21], v[18:19], s[14:15]
	v_add_f64 v[30:31], v[12:13], v[20:21]
	v_fma_f64 v[16:17], s[14:15], v[18:19], v[12:13]
	s_mov_b32 s15, 0x3c91a626
	v_add_f64 v[12:13], v[12:13], -v[30:31]
	v_fma_f64 v[28:29], s[14:15], v[18:19], v[20:21]
	v_add_f64 v[12:13], v[12:13], v[20:21]
	v_add_f64 v[20:21], v[30:31], -v[16:17]
	v_add_f64 v[12:13], v[20:21], v[12:13]
	s_mov_b32 s14, 0x252049c0
	v_add_f64 v[20:21], v[12:13], -v[28:29]
	s_mov_b32 s15, 0xb97b839a
	v_fmac_f64_e32 v[20:21], s[14:15], v[18:19]
	v_add_f64 v[12:13], v[16:17], v[20:21]
	v_add_f64 v[16:17], v[12:13], -v[16:17]
	v_add_f64 v[16:17], v[20:21], -v[16:17]
	v_cvt_i32_f64_e32 v1, v[18:19]
.LBB5_14:
	s_or_b64 exec, exec, s[0:1]
                                        ; implicit-def: $vgpr15
                                        ; implicit-def: $vgpr18_vgpr19
                                        ; implicit-def: $vgpr20_vgpr21
	s_and_saveexec_b64 s[0:1], s[12:13]
	s_xor_b64 s[12:13], exec, s[0:1]
	s_cbranch_execz .LBB5_16
; %bb.15:
	s_mov_b32 s0, 0
	s_mov_b32 s1, 0x7b000000
	s_movk_i32 s14, 0xff80
	v_and_b32_e32 v15, 0x7fffffff, v7
	v_ldexp_f64 v[18:19], |v[6:7]|, s14
	v_cmp_ge_f64_e64 vcc, |v[6:7]|, s[0:1]
	s_mov_b32 s0, 0
	s_mov_b32 s1, 0x7ff00000
	v_cndmask_b32_e32 v19, v15, v19, vcc
	v_cndmask_b32_e32 v18, v6, v18, vcc
	v_mul_f64 v[28:29], v[26:27], v[18:19]
	v_mul_f64 v[20:21], v[24:25], v[18:19]
	v_fma_f64 v[26:27], v[26:27], v[18:19], -v[28:29]
	v_add_f64 v[30:31], v[20:21], v[26:27]
	v_add_f64 v[38:39], v[30:31], -v[20:21]
	v_add_f64 v[26:27], v[26:27], -v[38:39]
	;; [unrolled: 1-line block ×4, first 2 shown]
	v_fma_f64 v[20:21], v[24:25], v[18:19], -v[20:21]
	v_mul_f64 v[24:25], v[22:23], v[18:19]
	v_add_f64 v[26:27], v[26:27], v[38:39]
	v_add_f64 v[38:39], v[24:25], v[20:21]
	;; [unrolled: 1-line block ×4, first 2 shown]
	v_ldexp_f64 v[34:35], v[32:33], -2
	v_add_f64 v[28:29], v[32:33], -v[28:29]
	v_add_f64 v[32:33], v[40:41], -v[38:39]
	;; [unrolled: 1-line block ×5, first 2 shown]
	v_add_f64 v[26:27], v[26:27], v[32:33]
	v_add_f64 v[32:33], v[38:39], -v[24:25]
	v_add_f64 v[20:21], v[20:21], -v[32:33]
	;; [unrolled: 1-line block ×4, first 2 shown]
	v_add_f64 v[20:21], v[20:21], v[32:33]
	v_fract_f64_e32 v[36:37], v[34:35]
	v_add_f64 v[20:21], v[20:21], v[26:27]
	v_fma_f64 v[18:19], v[22:23], v[18:19], -v[24:25]
	v_add_f64 v[28:29], v[30:31], -v[28:29]
	v_add_f64 v[18:19], v[18:19], v[20:21]
	v_ldexp_f64 v[20:21], v[36:37], 2
	v_cmp_neq_f64_e64 vcc, |v[34:35]|, s[0:1]
	v_add_f64 v[30:31], v[28:29], v[40:41]
	v_mov_b32_e32 v15, 0x40100000
	v_cndmask_b32_e32 v21, 0, v21, vcc
	v_cndmask_b32_e32 v20, 0, v20, vcc
	v_add_f64 v[22:23], v[30:31], v[20:21]
	v_cmp_gt_f64_e32 vcc, 0, v[22:23]
	v_mov_b32_e32 v22, 0
	v_add_f64 v[28:29], v[30:31], -v[28:29]
	v_cndmask_b32_e32 v23, 0, v15, vcc
	v_add_f64 v[20:21], v[20:21], v[22:23]
	v_add_f64 v[24:25], v[30:31], v[20:21]
	v_cvt_i32_f64_e32 v15, v[24:25]
	v_cvt_f64_i32_e32 v[24:25], v15
	v_add_f64 v[20:21], v[20:21], -v[24:25]
	v_add_f64 v[24:25], v[30:31], v[20:21]
	v_add_f64 v[28:29], v[40:41], -v[28:29]
	v_add_f64 v[20:21], v[24:25], -v[20:21]
	v_add_f64 v[18:19], v[28:29], v[18:19]
	v_add_f64 v[20:21], v[30:31], -v[20:21]
	v_add_f64 v[18:19], v[18:19], v[20:21]
	v_cmp_le_f64_e32 vcc, 0.5, v[24:25]
	v_mov_b32_e32 v20, 0x3ff00000
	s_mov_b32 s14, 0x33145c07
	v_cndmask_b32_e32 v23, 0, v20, vcc
	v_addc_co_u32_e64 v15, s[0:1], 0, v15, vcc
	v_add_f64 v[20:21], v[24:25], -v[22:23]
	v_add_f64 v[22:23], v[20:21], v[18:19]
	s_mov_b32 s0, 0x54442d18
	v_add_f64 v[20:21], v[22:23], -v[20:21]
	s_mov_b32 s1, 0x3ff921fb
	v_add_f64 v[18:19], v[18:19], -v[20:21]
	v_mul_f64 v[20:21], v[22:23], s[0:1]
	v_fma_f64 v[24:25], v[22:23], s[0:1], -v[20:21]
	s_mov_b32 s15, 0x3c91a626
	v_fmac_f64_e32 v[24:25], s[14:15], v[22:23]
	v_fmac_f64_e32 v[24:25], s[0:1], v[18:19]
	v_add_f64 v[18:19], v[20:21], v[24:25]
	v_add_f64 v[20:21], v[18:19], -v[20:21]
	v_add_f64 v[20:21], v[24:25], -v[20:21]
	s_andn2_saveexec_b64 s[0:1], s[12:13]
	s_cbranch_execnz .LBB5_17
	s_branch .LBB5_18
.LBB5_16:
	s_andn2_saveexec_b64 s[0:1], s[12:13]
	s_cbranch_execz .LBB5_18
.LBB5_17:
	s_mov_b32 s12, 0x6dc9c883
	s_mov_b32 s13, 0x3fe45f30
	v_mul_f64 v[18:19], |v[6:7]|, s[12:13]
	s_mov_b32 s12, 0x54442d18
	v_rndne_f64_e32 v[22:23], v[18:19]
	s_mov_b32 s13, 0xbff921fb
	v_fma_f64 v[18:19], v[22:23], s[12:13], |v[6:7]|
	s_mov_b32 s13, 0xbc91a626
	s_mov_b32 s12, 0x33145c00
	v_mul_f64 v[24:25], v[22:23], s[12:13]
	v_add_f64 v[28:29], v[18:19], v[24:25]
	v_fma_f64 v[20:21], s[12:13], v[22:23], v[18:19]
	s_mov_b32 s13, 0x3c91a626
	v_add_f64 v[18:19], v[18:19], -v[28:29]
	v_fma_f64 v[26:27], s[12:13], v[22:23], v[24:25]
	v_add_f64 v[18:19], v[18:19], v[24:25]
	v_add_f64 v[24:25], v[28:29], -v[20:21]
	v_add_f64 v[18:19], v[24:25], v[18:19]
	s_mov_b32 s12, 0x252049c0
	v_add_f64 v[24:25], v[18:19], -v[26:27]
	s_mov_b32 s13, 0xb97b839a
	v_fmac_f64_e32 v[24:25], s[12:13], v[22:23]
	v_add_f64 v[18:19], v[20:21], v[24:25]
	v_add_f64 v[20:21], v[18:19], -v[20:21]
	v_add_f64 v[20:21], v[24:25], -v[20:21]
	v_cvt_i32_f64_e32 v15, v[22:23]
.LBB5_18:
	s_or_b64 exec, exec, s[0:1]
	s_mov_b32 s0, 0
	s_mov_b32 s1, 0x40140000
	v_div_scale_f64 v[22:23], s[12:13], v[8:9], v[8:9], s[0:1]
	v_rcp_f64_e32 v[24:25], v[22:23]
	v_mov_b32_e32 v30, 0x5948aa83
	v_mov_b32_e32 v31, 0x3fb19fdd
	;; [unrolled: 1-line block ×3, first 2 shown]
	v_fma_f64 v[26:27], -v[22:23], v[24:25], 1.0
	v_fmac_f64_e32 v[24:25], v[24:25], v[26:27]
	v_fma_f64 v[26:27], -v[22:23], v[24:25], 1.0
	v_fmac_f64_e32 v[24:25], v[24:25], v[26:27]
	v_div_scale_f64 v[26:27], vcc, s[0:1], v[8:9], s[0:1]
	v_mul_f64 v[28:29], v[26:27], v[24:25]
	v_fma_f64 v[22:23], -v[22:23], v[28:29], v[26:27]
	v_mov_b32_e32 v26, 0x4c6c651b
	s_nop 0
	v_div_fmas_f64 v[22:23], v[22:23], v[24:25], v[28:29]
	v_div_fixup_f64 v[22:23], v[22:23], v[8:9], s[0:1]
	v_mul_f64 v[24:25], v[22:23], v[22:23]
	v_mov_b32_e32 v27, 0x3f48f92c
	v_fmac_f64_e32 v[26:27], 0, v[24:25]
	v_mov_b32_e32 v28, 0xa3fec4b6
	v_mov_b32_e32 v29, 0x3fb2b948
	v_fmac_f64_e32 v[28:29], v[24:25], v[26:27]
	v_mov_b32_e32 v26, 0xc21596d6
	;; [unrolled: 3-line block ×6, first 2 shown]
	v_mov_b32_e32 v27, 0x3f42b89b
	v_fmac_f64_e32 v[26:27], 0, v[24:25]
	v_fmac_f64_e32 v[30:31], v[24:25], v[26:27]
	v_mov_b32_e32 v26, 0xb850eed6
	v_mov_b32_e32 v27, 0x3ff1aea9
	v_fmac_f64_e32 v[26:27], v[24:25], v[30:31]
	v_mov_b32_e32 v30, 0xf7d251a1
	v_mov_b32_e32 v31, 0x40144ba2
	;; [unrolled: 3-line block ×4, first 2 shown]
	v_fmac_f64_e32 v[30:31], v[24:25], v[26:27]
	v_fma_f64 v[26:27], v[24:25], v[30:31], 1.0
	v_mov_b32_e32 v30, 0x6b70ba40
	v_mov_b32_e32 v31, 0x3faa27fa
	v_fmac_f64_e32 v[30:31], 0, v[24:25]
	v_mov_b32_e32 v33, 0x4013edb5
	v_fmac_f64_e32 v[32:33], v[24:25], v[30:31]
	v_mov_b32_e32 v30, 0x9acf1c67
	v_mov_b32_e32 v31, 0x4052f4b9
	v_fmac_f64_e32 v[30:31], v[24:25], v[32:33]
	v_mov_b32_e32 v32, 0x47aa180d
	;; [unrolled: 3-line block ×12, first 2 shown]
	v_mov_b32_e32 v35, 0x40a61462
	v_fma_f64 v[28:29], v[24:25], v[28:29], 1.0
	v_fmac_f64_e32 v[34:35], v[24:25], v[30:31]
	v_div_scale_f64 v[30:31], s[0:1], v[26:27], v[26:27], v[28:29]
	v_rcp_f64_e32 v[36:37], v[30:31]
	v_mov_b32_e32 v38, 0x6ae75997
	v_mov_b32_e32 v39, 0x4075017f
	v_fmac_f64_e32 v[38:39], v[24:25], v[34:35]
	v_fma_f64 v[24:25], -v[30:31], v[36:37], 1.0
	v_fmac_f64_e32 v[36:37], v[36:37], v[24:25]
	v_fma_f64 v[24:25], -v[30:31], v[36:37], 1.0
	v_fmac_f64_e32 v[36:37], v[36:37], v[24:25]
	v_div_scale_f64 v[24:25], vcc, v[28:29], v[26:27], v[28:29]
	v_mul_f64 v[34:35], v[24:25], v[36:37]
	v_fma_f64 v[24:25], -v[30:31], v[34:35], v[24:25]
	s_mov_b32 s0, 0x9037ab78
	s_nop 0
	v_div_fmas_f64 v[24:25], v[24:25], v[36:37], v[34:35]
	s_mov_b32 s1, 0x3e21eeb6
	s_mov_b32 s12, 0x46cc5e42
	v_div_fixup_f64 v[24:25], v[24:25], v[26:27], v[28:29]
	v_mul_f64 v[26:27], v[12:13], v[12:13]
	s_mov_b32 s13, 0xbda907db
	v_mov_b64_e32 v[36:37], s[0:1]
	s_mov_b32 s14, 0xa17f65f6
	v_mul_f64 v[28:29], v[26:27], 0.5
	v_fma_f64 v[40:41], s[12:13], v[26:27], v[36:37]
	s_mov_b32 s15, 0xbe927e4f
	s_mov_b32 s16, 0x19f4ec90
	v_add_f64 v[30:31], -v[28:29], 1.0
	v_fma_f64 v[40:41], v[26:27], v[40:41], s[14:15]
	s_mov_b32 s17, 0x3efa01a0
	s_mov_b32 s18, 0x16c16967
	v_add_f64 v[34:35], -v[30:31], 1.0
	v_fma_f64 v[40:41], v[26:27], v[40:41], s[16:17]
	s_mov_b32 s19, 0xbf56c16c
	s_mov_b32 s20, 0x55555555
	v_add_f64 v[28:29], v[34:35], -v[28:29]
	v_fma_f64 v[40:41], v[26:27], v[40:41], s[18:19]
	s_mov_b32 s21, 0x3fa55555
	v_mul_f64 v[34:35], v[26:27], v[26:27]
	v_fma_f64 v[40:41], v[26:27], v[40:41], s[20:21]
	v_fma_f64 v[28:29], v[12:13], -v[16:17], v[28:29]
	s_mov_b32 s0, 0xb42fdfa7
	v_fmac_f64_e32 v[28:29], v[34:35], v[40:41]
	s_mov_b32 s1, 0xbe5ae600
	s_mov_b32 s22, 0xf9a43bb8
	v_add_f64 v[28:29], v[30:31], v[28:29]
	s_mov_b32 s23, 0x3de5e0b2
	v_mov_b64_e32 v[30:31], s[0:1]
	s_mov_b32 s24, 0x796cde01
	v_fma_f64 v[34:35], s[22:23], v[26:27], v[30:31]
	s_mov_b32 s25, 0x3ec71de3
	s_mov_b32 s26, 0x19e83e5c
	v_fma_f64 v[34:35], v[26:27], v[34:35], s[24:25]
	s_mov_b32 s27, 0xbf2a01a0
	;; [unrolled: 3-line block ×3, first 2 shown]
	v_fma_f64 v[34:35], v[26:27], v[34:35], s[28:29]
	v_mul_f64 v[40:41], v[12:13], -v[26:27]
	v_mul_f64 v[42:43], v[16:17], 0.5
	v_fmac_f64_e32 v[42:43], v[40:41], v[34:35]
	v_fma_f64 v[16:17], v[26:27], v[42:43], -v[16:17]
	s_mov_b32 s31, 0xbfc55555
	s_mov_b32 s30, s20
	v_fmac_f64_e32 v[16:17], s[30:31], v[40:41]
	v_add_f64 v[12:13], v[12:13], -v[16:17]
	v_and_b32_e32 v16, 1, v1
	v_cmp_eq_u32_e32 vcc, 0, v16
	v_lshlrev_b32_e32 v1, 30, v1
	v_xor_b32_e32 v1, v1, v7
	v_cndmask_b32_e32 v26, v28, v12, vcc
	v_cndmask_b32_e32 v12, v29, v13, vcc
	s_brev_b32 s33, 1
	v_bitop3_b32 v1, v12, v1, s33 bitop3:0x78
	v_div_scale_f64 v[12:13], s[0:1], v[38:39], v[38:39], v[32:33]
	v_rcp_f64_e32 v[16:17], v[12:13]
	s_movk_i32 s34, 0x1f8
	v_cmp_class_f64_e64 s[0:1], v[6:7], s34
	v_mov_b32_e32 v34, 0x7ff80000
	s_nop 0
	v_cndmask_b32_e64 v6, 0, v26, s[0:1]
	v_fma_f64 v[26:27], -v[12:13], v[16:17], 1.0
	v_fmac_f64_e32 v[16:17], v[16:17], v[26:27]
	v_fma_f64 v[26:27], -v[12:13], v[16:17], 1.0
	v_fmac_f64_e32 v[16:17], v[16:17], v[26:27]
	v_div_scale_f64 v[26:27], vcc, v[32:33], v[38:39], v[32:33]
	v_mul_f64 v[28:29], v[26:27], v[16:17]
	v_fma_f64 v[12:13], -v[12:13], v[28:29], v[26:27]
	v_cndmask_b32_e64 v7, v34, v1, s[0:1]
	s_nop 0
	v_div_fmas_f64 v[12:13], v[12:13], v[16:17], v[28:29]
	v_div_fixup_f64 v[12:13], v[12:13], v[38:39], v[32:33]
	v_mul_f64 v[16:17], v[18:19], v[18:19]
	v_mul_f64 v[12:13], v[22:23], v[12:13]
	v_mul_f64 v[22:23], v[16:17], 0.5
	v_fmac_f64_e32 v[36:37], s[12:13], v[16:17]
	v_add_f64 v[26:27], -v[22:23], 1.0
	v_fma_f64 v[32:33], v[16:17], v[36:37], s[14:15]
	v_add_f64 v[28:29], -v[26:27], 1.0
	v_fma_f64 v[32:33], v[16:17], v[32:33], s[16:17]
	v_add_f64 v[22:23], v[28:29], -v[22:23]
	v_fma_f64 v[32:33], v[16:17], v[32:33], s[18:19]
	v_mul_f64 v[28:29], v[16:17], v[16:17]
	v_fma_f64 v[32:33], v[16:17], v[32:33], s[20:21]
	v_fma_f64 v[22:23], v[18:19], -v[20:21], v[22:23]
	v_fmac_f64_e32 v[22:23], v[28:29], v[32:33]
	v_fmac_f64_e32 v[30:31], s[22:23], v[16:17]
	v_add_f64 v[22:23], v[26:27], v[22:23]
	v_fma_f64 v[26:27], v[16:17], v[30:31], s[24:25]
	v_fma_f64 v[26:27], v[16:17], v[26:27], s[26:27]
	;; [unrolled: 1-line block ×3, first 2 shown]
	v_mul_f64 v[28:29], v[18:19], -v[16:17]
	v_mul_f64 v[30:31], v[20:21], 0.5
	v_fmac_f64_e32 v[30:31], v[28:29], v[26:27]
	v_fma_f64 v[16:17], v[16:17], v[30:31], -v[20:21]
	v_fmac_f64_e32 v[16:17], s[30:31], v[28:29]
	v_add_f64 v[16:17], v[18:19], -v[16:17]
	v_xor_b32_e32 v1, 0x80000000, v17
	v_and_b32_e32 v17, 1, v15
	v_cmp_eq_u32_e32 vcc, 0, v17
	v_lshlrev_b32_e32 v15, 30, v15
	s_nop 0
	v_cndmask_b32_e32 v1, v1, v23, vcc
	v_cndmask_b32_e32 v16, v16, v22, vcc
	v_bitop3_b32 v1, v1, v15, s33 bitop3:0x78
	v_cndmask_b32_e64 v16, 0, v16, s[0:1]
	v_cndmask_b32_e64 v17, v34, v1, s[0:1]
	s_mov_b32 s0, 0
	s_brev_b32 s1, 8
	v_mov_b32_e32 v1, 0x100
	v_cmp_gt_f64_e32 vcc, s[0:1], v[8:9]
	v_mul_f64 v[12:13], v[12:13], v[16:17]
	v_fmac_f64_e32 v[12:13], v[24:25], v[6:7]
	v_cndmask_b32_e32 v1, 0, v1, vcc
	v_ldexp_f64 v[6:7], v[8:9], v1
	v_rsq_f64_e32 v[8:9], v[6:7]
	v_mov_b32_e32 v1, 0xffffff80
	v_cndmask_b32_e32 v1, 0, v1, vcc
	s_mov_b32 s0, 0x33d43651
	v_mul_f64 v[16:17], v[6:7], v[8:9]
	v_mul_f64 v[8:9], v[8:9], 0.5
	v_fma_f64 v[18:19], -v[8:9], v[16:17], 0.5
	v_fmac_f64_e32 v[16:17], v[16:17], v[18:19]
	v_fma_f64 v[20:21], -v[16:17], v[16:17], v[6:7]
	v_fmac_f64_e32 v[8:9], v[8:9], v[18:19]
	v_fmac_f64_e32 v[16:17], v[20:21], v[8:9]
	v_fma_f64 v[18:19], -v[16:17], v[16:17], v[6:7]
	v_fmac_f64_e32 v[16:17], v[18:19], v[8:9]
	v_ldexp_f64 v[8:9], v[16:17], v1
	v_mov_b32_e32 v1, 0x260
	s_mov_b32 s1, 0x3fe98845
	v_cmp_class_f64_e32 vcc, v[6:7], v1
	v_mul_f64 v[12:13], v[12:13], s[0:1]
	s_nop 0
	v_cndmask_b32_e32 v7, v9, v7, vcc
	v_cndmask_b32_e32 v6, v8, v6, vcc
	v_div_scale_f64 v[8:9], s[0:1], v[6:7], v[6:7], v[12:13]
	v_rcp_f64_e32 v[16:17], v[8:9]
	s_nop 0
	v_fma_f64 v[18:19], -v[8:9], v[16:17], 1.0
	v_fmac_f64_e32 v[16:17], v[16:17], v[18:19]
	v_fma_f64 v[18:19], -v[8:9], v[16:17], 1.0
	v_fmac_f64_e32 v[16:17], v[16:17], v[18:19]
	v_div_scale_f64 v[18:19], vcc, v[12:13], v[6:7], v[12:13]
	v_mul_f64 v[20:21], v[18:19], v[16:17]
	v_fma_f64 v[8:9], -v[8:9], v[20:21], v[18:19]
	s_nop 1
	v_div_fmas_f64 v[8:9], v[8:9], v[16:17], v[20:21]
	v_div_fixup_f64 v[6:7], v[8:9], v[6:7], v[12:13]
.LBB5_19:
	s_or_b64 exec, exec, s[10:11]
	s_mov_b32 s0, 0
	s_mov_b32 s1, 0x40140000
	v_cmp_ge_f64_e32 vcc, s[0:1], v[10:11]
	s_and_saveexec_b64 s[0:1], vcc
	s_xor_b64 s[0:1], exec, s[0:1]
	s_cbranch_execz .LBB5_25
; %bb.20:
	v_mov_b32_e32 v8, 0
	v_cmp_neq_f64_e32 vcc, 0, v[10:11]
	v_mov_b32_e32 v9, 0xfff00000
	s_and_saveexec_b64 s[10:11], vcc
	s_cbranch_execz .LBB5_24
; %bb.21:
	v_mov_b32_e32 v8, 0
	v_cmp_nge_f64_e32 vcc, 0, v[10:11]
	v_mov_b32_e32 v9, 0x7ff80000
	s_and_saveexec_b64 s[12:13], vcc
	s_cbranch_execz .LBB5_23
; %bb.22:
	v_mul_f64 v[8:9], v[10:11], v[10:11]
	v_mov_b32_e32 v12, 0x62f9b6c5
	v_mov_b32_e32 v13, 0x41d2d2be
	v_fmac_f64_e32 v[12:13], 0, v[8:9]
	v_mov_b32_e32 v16, 0x58836521
	v_mov_b32_e32 v17, 0xc262d72d
	v_fmac_f64_e32 v[16:17], v[8:9], v[12:13]
	;; [unrolled: 3-line block ×14, first 2 shown]
	v_div_scale_f64 v[12:13], s[14:15], v[18:19], v[18:19], v[16:17]
	v_rcp_f64_e32 v[20:21], v[12:13]
	v_mov_b32_e32 v26, 0xd438c6b
	v_mov_b32_e32 v27, 0x425a52ba
	;; [unrolled: 1-line block ×3, first 2 shown]
	v_fma_f64 v[22:23], -v[12:13], v[20:21], 1.0
	v_fmac_f64_e32 v[20:21], v[20:21], v[22:23]
	v_fma_f64 v[22:23], -v[12:13], v[20:21], 1.0
	v_fmac_f64_e32 v[20:21], v[20:21], v[22:23]
	v_div_scale_f64 v[22:23], vcc, v[16:17], v[18:19], v[16:17]
	v_mul_f64 v[24:25], v[22:23], v[20:21]
	v_fma_f64 v[12:13], -v[12:13], v[24:25], v[22:23]
	v_mov_b32_e32 v22, 0x4cda4fc5
	v_mov_b32_e32 v23, 0xc1cad23c
	v_fmac_f64_e32 v[22:23], 0, v[8:9]
	v_fmac_f64_e32 v[26:27], v[8:9], v[22:23]
	v_mov_b32_e32 v22, 0xe6ccf175
	v_mov_b32_e32 v23, 0xc2d08a92
	v_fmac_f64_e32 v[22:23], v[8:9], v[26:27]
	v_mov_b32_e32 v26, 0x1b7086e7
	v_mov_b32_e32 v27, 0x408366b1
	v_fmac_f64_e32 v[26:27], 0, v[8:9]
	v_mov_b32_e32 v29, 0x410f5eda
	v_fmac_f64_e32 v[28:29], v[8:9], v[26:27]
	v_mov_b32_e32 v26, 0xdc92a1b1
	v_mov_b32_e32 v27, 0x4193e954
	v_fmac_f64_e32 v[26:27], v[8:9], v[28:29]
	v_mov_b32_e32 v28, 0x7befeac1
	;; [unrolled: 3-line block ×7, first 2 shown]
	v_mov_b32_e32 v27, 0x432a2b42
	v_fmac_f64_e32 v[26:27], v[8:9], v[22:23]
	v_div_scale_f64 v[8:9], s[14:15], v[28:29], v[28:29], v[26:27]
	v_rcp_f64_e32 v[22:23], v[8:9]
	v_div_fmas_f64 v[12:13], v[12:13], v[20:21], v[24:25]
	v_div_fixup_f64 v[12:13], v[12:13], v[18:19], v[16:17]
	s_mov_b32 s14, 0x55555555
	v_fma_f64 v[16:17], -v[8:9], v[22:23], 1.0
	v_fmac_f64_e32 v[22:23], v[22:23], v[16:17]
	v_fma_f64 v[16:17], -v[8:9], v[22:23], 1.0
	v_fmac_f64_e32 v[22:23], v[22:23], v[16:17]
	v_div_scale_f64 v[16:17], vcc, v[26:27], v[28:29], v[26:27]
	v_mul_f64 v[18:19], v[16:17], v[22:23]
	v_fma_f64 v[8:9], -v[8:9], v[18:19], v[16:17]
	v_mov_b32_e32 v16, 0x4189822c
	s_nop 0
	v_div_fmas_f64 v[8:9], v[8:9], v[22:23], v[18:19]
	v_div_fixup_f64 v[8:9], v[8:9], v[28:29], v[26:27]
	v_mov_b32_e32 v17, 0xc02d5d2b
	v_mul_f64 v[8:9], v[10:11], v[8:9]
	v_fmac_f64_e32 v[16:17], v[10:11], v[10:11]
	v_mul_f64 v[8:9], v[16:17], v[8:9]
	v_mov_b32_e32 v16, 0x6072a432
	v_mov_b32_e32 v17, 0xc0489bf6
	v_fmac_f64_e32 v[16:17], v[10:11], v[10:11]
	v_mul_f64 v[8:9], v[16:17], v[8:9]
	v_frexp_mant_f64_e32 v[16:17], v[10:11]
	s_mov_b32 s15, 0x3fe55555
	v_cmp_gt_f64_e32 vcc, s[14:15], v[16:17]
	s_mov_b32 s14, 0xbf559e2b
	s_mov_b32 s15, 0x3fc3ab76
	v_cndmask_b32_e64 v15, 0, 1, vcc
	v_ldexp_f64 v[16:17], v[16:17], v15
	v_add_f64 v[18:19], v[16:17], 1.0
	v_rcp_f64_e32 v[20:21], v[18:19]
	v_add_f64 v[24:25], v[18:19], -1.0
	v_add_f64 v[22:23], v[16:17], -1.0
	v_add_f64 v[16:17], v[16:17], -v[24:25]
	v_fma_f64 v[24:25], -v[18:19], v[20:21], 1.0
	v_fmac_f64_e32 v[20:21], v[24:25], v[20:21]
	v_fma_f64 v[24:25], -v[18:19], v[20:21], 1.0
	v_fmac_f64_e32 v[20:21], v[24:25], v[20:21]
	v_mul_f64 v[24:25], v[22:23], v[20:21]
	v_mul_f64 v[26:27], v[18:19], v[24:25]
	v_fma_f64 v[18:19], v[24:25], v[18:19], -v[26:27]
	v_fmac_f64_e32 v[18:19], v[24:25], v[16:17]
	v_add_f64 v[16:17], v[26:27], v[18:19]
	v_add_f64 v[28:29], v[22:23], -v[16:17]
	v_add_f64 v[26:27], v[16:17], -v[26:27]
	;; [unrolled: 1-line block ×5, first 2 shown]
	v_add_f64 v[16:17], v[18:19], v[16:17]
	v_add_f64 v[16:17], v[28:29], v[16:17]
	v_mul_f64 v[16:17], v[20:21], v[16:17]
	v_add_f64 v[18:19], v[24:25], v[16:17]
	v_add_f64 v[20:21], v[18:19], -v[24:25]
	v_add_f64 v[16:17], v[16:17], -v[20:21]
	v_mul_f64 v[20:21], v[18:19], v[18:19]
	v_mov_b32_e32 v22, 0x6b47b09a
	v_mov_b32_e32 v23, 0x3fc38538
	v_fmac_f64_e32 v[22:23], s[14:15], v[20:21]
	v_mov_b32_e32 v24, 0xd7f4df2e
	v_mov_b32_e32 v25, 0x3fc7474d
	v_fmac_f64_e32 v[24:25], v[20:21], v[22:23]
	;; [unrolled: 3-line block ×6, first 2 shown]
	v_ldexp_f64 v[22:23], v[18:19], 1
	v_mul_f64 v[18:19], v[18:19], v[20:21]
	v_mul_f64 v[18:19], v[18:19], v[24:25]
	v_add_f64 v[20:21], v[22:23], v[18:19]
	v_add_f64 v[22:23], v[20:21], -v[22:23]
	v_ldexp_f64 v[16:17], v[16:17], 1
	v_add_f64 v[18:19], v[18:19], -v[22:23]
	v_add_f64 v[16:17], v[16:17], v[18:19]
	v_frexp_exp_i32_f64_e32 v1, v[10:11]
	v_add_f64 v[18:19], v[20:21], v[16:17]
	v_subbrev_co_u32_e32 v1, vcc, 0, v1, vcc
	v_add_f64 v[20:21], v[18:19], -v[20:21]
	s_mov_b32 s14, 0xfefa39ef
	v_add_f64 v[16:17], v[16:17], -v[20:21]
	v_cvt_f64_i32_e32 v[20:21], v1
	s_mov_b32 s15, 0x3fe62e42
	v_mul_f64 v[22:23], v[20:21], s[14:15]
	v_fma_f64 v[24:25], v[20:21], s[14:15], -v[22:23]
	s_mov_b32 s14, 0x3b39803f
	s_mov_b32 s15, 0x3c7abc9e
	v_fmac_f64_e32 v[24:25], s[14:15], v[20:21]
	v_add_f64 v[20:21], v[22:23], v[24:25]
	v_add_f64 v[22:23], v[20:21], -v[22:23]
	v_add_f64 v[22:23], v[24:25], -v[22:23]
	v_add_f64 v[24:25], v[20:21], v[18:19]
	v_add_f64 v[26:27], v[24:25], -v[20:21]
	v_add_f64 v[28:29], v[24:25], -v[26:27]
	;; [unrolled: 1-line block ×4, first 2 shown]
	v_add_f64 v[18:19], v[18:19], v[20:21]
	v_add_f64 v[20:21], v[22:23], v[16:17]
	v_add_f64 v[26:27], v[20:21], -v[22:23]
	v_add_f64 v[28:29], v[20:21], -v[26:27]
	v_add_f64 v[18:19], v[20:21], v[18:19]
	v_add_f64 v[22:23], v[22:23], -v[28:29]
	v_add_f64 v[16:17], v[16:17], -v[26:27]
	v_add_f64 v[20:21], v[24:25], v[18:19]
	v_add_f64 v[16:17], v[16:17], v[22:23]
	v_add_f64 v[22:23], v[20:21], -v[24:25]
	v_div_scale_f64 v[24:25], s[14:15], v[10:11], v[10:11], -1.0
	v_rcp_f64_e32 v[26:27], v[24:25]
	v_add_f64 v[18:19], v[18:19], -v[22:23]
	v_add_f64 v[16:17], v[16:17], v[18:19]
	v_add_f64 v[16:17], v[20:21], v[16:17]
	v_fma_f64 v[18:19], -v[24:25], v[26:27], 1.0
	v_fmac_f64_e32 v[26:27], v[26:27], v[18:19]
	v_fma_f64 v[18:19], -v[24:25], v[26:27], 1.0
	v_fmac_f64_e32 v[26:27], v[26:27], v[18:19]
	v_div_scale_f64 v[18:19], vcc, -1.0, v[10:11], -1.0
	v_mul_f64 v[20:21], v[18:19], v[26:27]
	v_fma_f64 v[18:19], -v[24:25], v[20:21], v[18:19]
	s_mov_b32 s14, 0x6dc9c883
	s_nop 0
	v_div_fmas_f64 v[18:19], v[18:19], v[26:27], v[20:21]
	v_div_fixup_f64 v[18:19], v[18:19], v[10:11], -1.0
	v_fmac_f64_e32 v[18:19], v[8:9], v[16:17]
	s_mov_b32 s15, 0x3fe45f30
	v_mul_f64 v[8:9], v[18:19], s[14:15]
	v_fmac_f64_e32 v[8:9], v[10:11], v[12:13]
.LBB5_23:
	s_or_b64 exec, exec, s[12:13]
.LBB5_24:
	s_or_b64 exec, exec, s[10:11]
                                        ; implicit-def: $vgpr10_vgpr11
.LBB5_25:
	s_andn2_saveexec_b64 s[10:11], s[0:1]
	s_cbranch_execz .LBB5_35
; %bb.26:
	s_mov_b32 s0, 0x7f3321d2
	s_mov_b32 s1, 0xc002d97c
	v_add_f64 v[8:9], v[10:11], s[0:1]
	s_mov_b32 s0, 0
	s_mov_b32 s1, 0x41d00000
	v_cmp_nlt_f64_e64 s[12:13], |v[8:9]|, s[0:1]
	v_trig_preop_f64 v[26:27], |v[8:9]|, 0
	v_trig_preop_f64 v[24:25], |v[8:9]|, 1
	;; [unrolled: 1-line block ×3, first 2 shown]
                                        ; implicit-def: $vgpr1
                                        ; implicit-def: $vgpr12_vgpr13
                                        ; implicit-def: $vgpr16_vgpr17
	s_and_saveexec_b64 s[0:1], s[12:13]
	s_xor_b64 s[14:15], exec, s[0:1]
	s_cbranch_execz .LBB5_28
; %bb.27:
	s_mov_b32 s0, 0
	s_mov_b32 s1, 0x7b000000
	s_movk_i32 s16, 0xff80
	v_and_b32_e32 v1, 0x7fffffff, v9
	v_ldexp_f64 v[12:13], |v[8:9]|, s16
	v_cmp_ge_f64_e64 vcc, |v[8:9]|, s[0:1]
	s_mov_b32 s0, 0
	s_mov_b32 s1, 0x7ff00000
	v_cndmask_b32_e32 v13, v1, v13, vcc
	v_cndmask_b32_e32 v12, v8, v12, vcc
	v_mul_f64 v[18:19], v[26:27], v[12:13]
	v_mul_f64 v[16:17], v[24:25], v[12:13]
	v_fma_f64 v[20:21], v[26:27], v[12:13], -v[18:19]
	v_add_f64 v[28:29], v[16:17], v[20:21]
	v_add_f64 v[36:37], v[28:29], -v[16:17]
	v_add_f64 v[20:21], v[20:21], -v[36:37]
	;; [unrolled: 1-line block ×4, first 2 shown]
	v_add_f64 v[20:21], v[20:21], v[36:37]
	v_fma_f64 v[16:17], v[24:25], v[12:13], -v[16:17]
	v_mul_f64 v[36:37], v[22:23], v[12:13]
	v_add_f64 v[38:39], v[36:37], v[16:17]
	v_add_f64 v[30:31], v[18:19], v[28:29]
	;; [unrolled: 1-line block ×3, first 2 shown]
	v_ldexp_f64 v[32:33], v[30:31], -2
	v_add_f64 v[18:19], v[30:31], -v[18:19]
	v_add_f64 v[30:31], v[40:41], -v[38:39]
	;; [unrolled: 1-line block ×5, first 2 shown]
	v_add_f64 v[20:21], v[20:21], v[30:31]
	v_add_f64 v[30:31], v[38:39], -v[36:37]
	v_add_f64 v[16:17], v[16:17], -v[30:31]
	;; [unrolled: 1-line block ×5, first 2 shown]
	v_add_f64 v[16:17], v[16:17], v[30:31]
	v_fract_f64_e32 v[34:35], v[32:33]
	v_add_f64 v[28:29], v[18:19], v[40:41]
	v_add_f64 v[16:17], v[16:17], v[20:21]
	v_fma_f64 v[12:13], v[22:23], v[12:13], -v[36:37]
	v_add_f64 v[18:19], v[28:29], -v[18:19]
	v_add_f64 v[12:13], v[12:13], v[16:17]
	v_ldexp_f64 v[16:17], v[34:35], 2
	v_cmp_neq_f64_e64 vcc, |v[32:33]|, s[0:1]
	v_add_f64 v[18:19], v[40:41], -v[18:19]
	v_add_f64 v[12:13], v[18:19], v[12:13]
	v_cndmask_b32_e32 v17, 0, v17, vcc
	v_cndmask_b32_e32 v16, 0, v16, vcc
	v_add_f64 v[18:19], v[28:29], v[16:17]
	v_mov_b32_e32 v1, 0x40100000
	v_cmp_gt_f64_e32 vcc, 0, v[18:19]
	v_mov_b32_e32 v18, 0
	v_mov_b32_e32 v15, 0x3ff00000
	v_cndmask_b32_e32 v19, 0, v1, vcc
	v_add_f64 v[16:17], v[16:17], v[18:19]
	v_add_f64 v[20:21], v[28:29], v[16:17]
	v_cvt_i32_f64_e32 v1, v[20:21]
	v_cvt_f64_i32_e32 v[20:21], v1
	v_add_f64 v[16:17], v[16:17], -v[20:21]
	v_add_f64 v[20:21], v[28:29], v[16:17]
	v_add_f64 v[16:17], v[20:21], -v[16:17]
	v_cmp_le_f64_e32 vcc, 0.5, v[20:21]
	v_add_f64 v[16:17], v[28:29], -v[16:17]
	v_add_f64 v[12:13], v[12:13], v[16:17]
	v_cndmask_b32_e32 v19, 0, v15, vcc
	v_addc_co_u32_e64 v1, s[0:1], 0, v1, vcc
	v_add_f64 v[16:17], v[20:21], -v[18:19]
	v_add_f64 v[18:19], v[16:17], v[12:13]
	s_mov_b32 s0, 0x54442d18
	v_add_f64 v[16:17], v[18:19], -v[16:17]
	s_mov_b32 s1, 0x3ff921fb
	v_add_f64 v[12:13], v[12:13], -v[16:17]
	v_mul_f64 v[16:17], v[18:19], s[0:1]
	s_mov_b32 s16, 0x33145c07
	v_fma_f64 v[20:21], v[18:19], s[0:1], -v[16:17]
	s_mov_b32 s17, 0x3c91a626
	v_fmac_f64_e32 v[20:21], s[16:17], v[18:19]
	v_fmac_f64_e32 v[20:21], s[0:1], v[12:13]
	v_add_f64 v[12:13], v[16:17], v[20:21]
	v_add_f64 v[16:17], v[12:13], -v[16:17]
	v_add_f64 v[16:17], v[20:21], -v[16:17]
	s_andn2_saveexec_b64 s[0:1], s[14:15]
	s_cbranch_execz .LBB5_30
	s_branch .LBB5_29
.LBB5_28:
	s_andn2_saveexec_b64 s[0:1], s[14:15]
	s_cbranch_execz .LBB5_30
.LBB5_29:
	s_mov_b32 s14, 0x6dc9c883
	s_mov_b32 s15, 0x3fe45f30
	v_mul_f64 v[12:13], |v[8:9]|, s[14:15]
	s_mov_b32 s14, 0x54442d18
	v_rndne_f64_e32 v[18:19], v[12:13]
	s_mov_b32 s15, 0xbff921fb
	v_fma_f64 v[12:13], v[18:19], s[14:15], |v[8:9]|
	s_mov_b32 s15, 0xbc91a626
	s_mov_b32 s14, 0x33145c00
	v_mul_f64 v[20:21], v[18:19], s[14:15]
	v_add_f64 v[30:31], v[12:13], v[20:21]
	v_fma_f64 v[16:17], s[14:15], v[18:19], v[12:13]
	s_mov_b32 s15, 0x3c91a626
	v_add_f64 v[12:13], v[12:13], -v[30:31]
	v_fma_f64 v[28:29], s[14:15], v[18:19], v[20:21]
	v_add_f64 v[12:13], v[12:13], v[20:21]
	v_add_f64 v[20:21], v[30:31], -v[16:17]
	v_add_f64 v[12:13], v[20:21], v[12:13]
	s_mov_b32 s14, 0x252049c0
	v_add_f64 v[20:21], v[12:13], -v[28:29]
	s_mov_b32 s15, 0xb97b839a
	v_fmac_f64_e32 v[20:21], s[14:15], v[18:19]
	v_add_f64 v[12:13], v[16:17], v[20:21]
	v_add_f64 v[16:17], v[12:13], -v[16:17]
	v_add_f64 v[16:17], v[20:21], -v[16:17]
	v_cvt_i32_f64_e32 v1, v[18:19]
.LBB5_30:
	s_or_b64 exec, exec, s[0:1]
                                        ; implicit-def: $vgpr15
                                        ; implicit-def: $vgpr18_vgpr19
                                        ; implicit-def: $vgpr20_vgpr21
	s_and_saveexec_b64 s[0:1], s[12:13]
	s_xor_b64 s[12:13], exec, s[0:1]
	s_cbranch_execz .LBB5_32
; %bb.31:
	s_mov_b32 s0, 0
	s_mov_b32 s1, 0x7b000000
	s_movk_i32 s14, 0xff80
	v_and_b32_e32 v15, 0x7fffffff, v9
	v_ldexp_f64 v[18:19], |v[8:9]|, s14
	v_cmp_ge_f64_e64 vcc, |v[8:9]|, s[0:1]
	s_mov_b32 s0, 0
	s_mov_b32 s1, 0x7ff00000
	v_cndmask_b32_e32 v19, v15, v19, vcc
	v_cndmask_b32_e32 v18, v8, v18, vcc
	v_mul_f64 v[28:29], v[26:27], v[18:19]
	v_mul_f64 v[20:21], v[24:25], v[18:19]
	v_fma_f64 v[26:27], v[26:27], v[18:19], -v[28:29]
	v_add_f64 v[30:31], v[20:21], v[26:27]
	v_add_f64 v[38:39], v[30:31], -v[20:21]
	v_add_f64 v[26:27], v[26:27], -v[38:39]
	;; [unrolled: 1-line block ×4, first 2 shown]
	v_fma_f64 v[20:21], v[24:25], v[18:19], -v[20:21]
	v_mul_f64 v[24:25], v[22:23], v[18:19]
	v_add_f64 v[26:27], v[26:27], v[38:39]
	v_add_f64 v[38:39], v[24:25], v[20:21]
	;; [unrolled: 1-line block ×4, first 2 shown]
	v_ldexp_f64 v[34:35], v[32:33], -2
	v_add_f64 v[28:29], v[32:33], -v[28:29]
	v_add_f64 v[32:33], v[40:41], -v[38:39]
	;; [unrolled: 1-line block ×5, first 2 shown]
	v_add_f64 v[26:27], v[26:27], v[32:33]
	v_add_f64 v[32:33], v[38:39], -v[24:25]
	v_add_f64 v[20:21], v[20:21], -v[32:33]
	;; [unrolled: 1-line block ×4, first 2 shown]
	v_add_f64 v[20:21], v[20:21], v[32:33]
	v_fract_f64_e32 v[36:37], v[34:35]
	v_add_f64 v[20:21], v[20:21], v[26:27]
	v_fma_f64 v[18:19], v[22:23], v[18:19], -v[24:25]
	v_add_f64 v[28:29], v[30:31], -v[28:29]
	v_add_f64 v[18:19], v[18:19], v[20:21]
	v_ldexp_f64 v[20:21], v[36:37], 2
	v_cmp_neq_f64_e64 vcc, |v[34:35]|, s[0:1]
	v_add_f64 v[30:31], v[28:29], v[40:41]
	v_mov_b32_e32 v15, 0x40100000
	v_cndmask_b32_e32 v21, 0, v21, vcc
	v_cndmask_b32_e32 v20, 0, v20, vcc
	v_add_f64 v[22:23], v[30:31], v[20:21]
	v_cmp_gt_f64_e32 vcc, 0, v[22:23]
	v_mov_b32_e32 v22, 0
	v_add_f64 v[28:29], v[30:31], -v[28:29]
	v_cndmask_b32_e32 v23, 0, v15, vcc
	v_add_f64 v[20:21], v[20:21], v[22:23]
	v_add_f64 v[24:25], v[30:31], v[20:21]
	v_cvt_i32_f64_e32 v15, v[24:25]
	v_cvt_f64_i32_e32 v[24:25], v15
	v_add_f64 v[20:21], v[20:21], -v[24:25]
	v_add_f64 v[24:25], v[30:31], v[20:21]
	v_add_f64 v[28:29], v[40:41], -v[28:29]
	v_add_f64 v[20:21], v[24:25], -v[20:21]
	v_add_f64 v[18:19], v[28:29], v[18:19]
	v_add_f64 v[20:21], v[30:31], -v[20:21]
	v_add_f64 v[18:19], v[18:19], v[20:21]
	v_cmp_le_f64_e32 vcc, 0.5, v[24:25]
	v_mov_b32_e32 v20, 0x3ff00000
	s_mov_b32 s14, 0x33145c07
	v_cndmask_b32_e32 v23, 0, v20, vcc
	v_addc_co_u32_e64 v15, s[0:1], 0, v15, vcc
	v_add_f64 v[20:21], v[24:25], -v[22:23]
	v_add_f64 v[22:23], v[20:21], v[18:19]
	s_mov_b32 s0, 0x54442d18
	v_add_f64 v[20:21], v[22:23], -v[20:21]
	s_mov_b32 s1, 0x3ff921fb
	v_add_f64 v[18:19], v[18:19], -v[20:21]
	v_mul_f64 v[20:21], v[22:23], s[0:1]
	v_fma_f64 v[24:25], v[22:23], s[0:1], -v[20:21]
	s_mov_b32 s15, 0x3c91a626
	v_fmac_f64_e32 v[24:25], s[14:15], v[22:23]
	v_fmac_f64_e32 v[24:25], s[0:1], v[18:19]
	v_add_f64 v[18:19], v[20:21], v[24:25]
	v_add_f64 v[20:21], v[18:19], -v[20:21]
	v_add_f64 v[20:21], v[24:25], -v[20:21]
	s_andn2_saveexec_b64 s[0:1], s[12:13]
	s_cbranch_execnz .LBB5_33
	s_branch .LBB5_34
.LBB5_32:
	s_andn2_saveexec_b64 s[0:1], s[12:13]
	s_cbranch_execz .LBB5_34
.LBB5_33:
	s_mov_b32 s12, 0x6dc9c883
	s_mov_b32 s13, 0x3fe45f30
	v_mul_f64 v[18:19], |v[8:9]|, s[12:13]
	s_mov_b32 s12, 0x54442d18
	v_rndne_f64_e32 v[22:23], v[18:19]
	s_mov_b32 s13, 0xbff921fb
	v_fma_f64 v[18:19], v[22:23], s[12:13], |v[8:9]|
	s_mov_b32 s13, 0xbc91a626
	s_mov_b32 s12, 0x33145c00
	v_mul_f64 v[24:25], v[22:23], s[12:13]
	v_add_f64 v[28:29], v[18:19], v[24:25]
	v_fma_f64 v[20:21], s[12:13], v[22:23], v[18:19]
	s_mov_b32 s13, 0x3c91a626
	v_add_f64 v[18:19], v[18:19], -v[28:29]
	v_fma_f64 v[26:27], s[12:13], v[22:23], v[24:25]
	v_add_f64 v[18:19], v[18:19], v[24:25]
	v_add_f64 v[24:25], v[28:29], -v[20:21]
	v_add_f64 v[18:19], v[24:25], v[18:19]
	s_mov_b32 s12, 0x252049c0
	v_add_f64 v[24:25], v[18:19], -v[26:27]
	s_mov_b32 s13, 0xb97b839a
	v_fmac_f64_e32 v[24:25], s[12:13], v[22:23]
	v_add_f64 v[18:19], v[20:21], v[24:25]
	v_add_f64 v[20:21], v[18:19], -v[20:21]
	v_add_f64 v[20:21], v[24:25], -v[20:21]
	v_cvt_i32_f64_e32 v15, v[22:23]
.LBB5_34:
	s_or_b64 exec, exec, s[0:1]
	s_mov_b32 s0, 0
	s_mov_b32 s1, 0x40140000
	v_div_scale_f64 v[22:23], s[12:13], v[10:11], v[10:11], s[0:1]
	v_rcp_f64_e32 v[24:25], v[22:23]
	v_mov_b32_e32 v30, 0x5948aa83
	v_mov_b32_e32 v31, 0x3fb19fdd
	;; [unrolled: 1-line block ×3, first 2 shown]
	v_fma_f64 v[26:27], -v[22:23], v[24:25], 1.0
	v_fmac_f64_e32 v[24:25], v[24:25], v[26:27]
	v_fma_f64 v[26:27], -v[22:23], v[24:25], 1.0
	v_fmac_f64_e32 v[24:25], v[24:25], v[26:27]
	v_div_scale_f64 v[26:27], vcc, s[0:1], v[10:11], s[0:1]
	v_mul_f64 v[28:29], v[26:27], v[24:25]
	v_fma_f64 v[22:23], -v[22:23], v[28:29], v[26:27]
	v_mov_b32_e32 v26, 0x4c6c651b
	s_nop 0
	v_div_fmas_f64 v[22:23], v[22:23], v[24:25], v[28:29]
	v_div_fixup_f64 v[22:23], v[22:23], v[10:11], s[0:1]
	v_mul_f64 v[24:25], v[22:23], v[22:23]
	v_mov_b32_e32 v27, 0x3f48f92c
	v_fmac_f64_e32 v[26:27], 0, v[24:25]
	v_mov_b32_e32 v28, 0xa3fec4b6
	v_mov_b32_e32 v29, 0x3fb2b948
	v_fmac_f64_e32 v[28:29], v[24:25], v[26:27]
	v_mov_b32_e32 v26, 0xc21596d6
	;; [unrolled: 3-line block ×6, first 2 shown]
	v_mov_b32_e32 v27, 0x3f42b89b
	v_fmac_f64_e32 v[26:27], 0, v[24:25]
	v_fmac_f64_e32 v[30:31], v[24:25], v[26:27]
	v_mov_b32_e32 v26, 0xb850eed6
	v_mov_b32_e32 v27, 0x3ff1aea9
	v_fmac_f64_e32 v[26:27], v[24:25], v[30:31]
	v_mov_b32_e32 v30, 0xf7d251a1
	v_mov_b32_e32 v31, 0x40144ba2
	;; [unrolled: 3-line block ×4, first 2 shown]
	v_fmac_f64_e32 v[30:31], v[24:25], v[26:27]
	v_fma_f64 v[26:27], v[24:25], v[30:31], 1.0
	v_mov_b32_e32 v30, 0x6b70ba40
	v_mov_b32_e32 v31, 0x3faa27fa
	v_fmac_f64_e32 v[30:31], 0, v[24:25]
	v_mov_b32_e32 v33, 0x4013edb5
	v_fmac_f64_e32 v[32:33], v[24:25], v[30:31]
	v_mov_b32_e32 v30, 0x9acf1c67
	v_mov_b32_e32 v31, 0x4052f4b9
	v_fmac_f64_e32 v[30:31], v[24:25], v[32:33]
	v_mov_b32_e32 v32, 0x47aa180d
	;; [unrolled: 3-line block ×12, first 2 shown]
	v_mov_b32_e32 v35, 0x40a61462
	v_fma_f64 v[28:29], v[24:25], v[28:29], 1.0
	v_fmac_f64_e32 v[34:35], v[24:25], v[30:31]
	v_div_scale_f64 v[30:31], s[0:1], v[26:27], v[26:27], v[28:29]
	v_rcp_f64_e32 v[36:37], v[30:31]
	v_mov_b32_e32 v38, 0x6ae75997
	v_mov_b32_e32 v39, 0x4075017f
	v_fmac_f64_e32 v[38:39], v[24:25], v[34:35]
	v_fma_f64 v[24:25], -v[30:31], v[36:37], 1.0
	v_fmac_f64_e32 v[36:37], v[36:37], v[24:25]
	v_fma_f64 v[24:25], -v[30:31], v[36:37], 1.0
	v_fmac_f64_e32 v[36:37], v[36:37], v[24:25]
	v_div_scale_f64 v[24:25], vcc, v[28:29], v[26:27], v[28:29]
	v_mul_f64 v[34:35], v[24:25], v[36:37]
	v_fma_f64 v[24:25], -v[30:31], v[34:35], v[24:25]
	s_mov_b32 s0, 0x9037ab78
	s_nop 0
	v_div_fmas_f64 v[24:25], v[24:25], v[36:37], v[34:35]
	s_mov_b32 s1, 0x3e21eeb6
	s_mov_b32 s12, 0x46cc5e42
	v_div_fixup_f64 v[24:25], v[24:25], v[26:27], v[28:29]
	v_mul_f64 v[26:27], v[12:13], v[12:13]
	s_mov_b32 s13, 0xbda907db
	v_mov_b64_e32 v[36:37], s[0:1]
	s_mov_b32 s14, 0xa17f65f6
	v_mul_f64 v[28:29], v[26:27], 0.5
	v_fma_f64 v[40:41], s[12:13], v[26:27], v[36:37]
	s_mov_b32 s15, 0xbe927e4f
	s_mov_b32 s16, 0x19f4ec90
	v_add_f64 v[30:31], -v[28:29], 1.0
	v_fma_f64 v[40:41], v[26:27], v[40:41], s[14:15]
	s_mov_b32 s17, 0x3efa01a0
	s_mov_b32 s18, 0x16c16967
	v_add_f64 v[34:35], -v[30:31], 1.0
	v_fma_f64 v[40:41], v[26:27], v[40:41], s[16:17]
	s_mov_b32 s19, 0xbf56c16c
	s_mov_b32 s20, 0x55555555
	v_add_f64 v[28:29], v[34:35], -v[28:29]
	v_fma_f64 v[40:41], v[26:27], v[40:41], s[18:19]
	s_mov_b32 s21, 0x3fa55555
	v_mul_f64 v[34:35], v[26:27], v[26:27]
	v_fma_f64 v[40:41], v[26:27], v[40:41], s[20:21]
	v_fma_f64 v[28:29], v[12:13], -v[16:17], v[28:29]
	s_mov_b32 s0, 0xb42fdfa7
	v_fmac_f64_e32 v[28:29], v[34:35], v[40:41]
	s_mov_b32 s1, 0xbe5ae600
	s_mov_b32 s22, 0xf9a43bb8
	v_add_f64 v[28:29], v[30:31], v[28:29]
	s_mov_b32 s23, 0x3de5e0b2
	v_mov_b64_e32 v[30:31], s[0:1]
	s_mov_b32 s24, 0x796cde01
	v_fma_f64 v[34:35], s[22:23], v[26:27], v[30:31]
	s_mov_b32 s25, 0x3ec71de3
	s_mov_b32 s26, 0x19e83e5c
	v_fma_f64 v[34:35], v[26:27], v[34:35], s[24:25]
	s_mov_b32 s27, 0xbf2a01a0
	;; [unrolled: 3-line block ×3, first 2 shown]
	v_fma_f64 v[34:35], v[26:27], v[34:35], s[28:29]
	v_mul_f64 v[40:41], v[12:13], -v[26:27]
	v_mul_f64 v[42:43], v[16:17], 0.5
	v_fmac_f64_e32 v[42:43], v[40:41], v[34:35]
	v_fma_f64 v[16:17], v[26:27], v[42:43], -v[16:17]
	s_mov_b32 s31, 0xbfc55555
	s_mov_b32 s30, s20
	v_fmac_f64_e32 v[16:17], s[30:31], v[40:41]
	v_add_f64 v[12:13], v[12:13], -v[16:17]
	v_and_b32_e32 v16, 1, v1
	v_cmp_eq_u32_e32 vcc, 0, v16
	v_lshlrev_b32_e32 v1, 30, v1
	v_xor_b32_e32 v1, v1, v9
	v_cndmask_b32_e32 v26, v28, v12, vcc
	v_cndmask_b32_e32 v12, v29, v13, vcc
	s_brev_b32 s33, 1
	v_bitop3_b32 v1, v12, v1, s33 bitop3:0x78
	v_div_scale_f64 v[12:13], s[0:1], v[38:39], v[38:39], v[32:33]
	v_rcp_f64_e32 v[16:17], v[12:13]
	s_movk_i32 s34, 0x1f8
	v_cmp_class_f64_e64 s[0:1], v[8:9], s34
	v_mov_b32_e32 v34, 0x7ff80000
	s_nop 0
	v_cndmask_b32_e64 v8, 0, v26, s[0:1]
	v_fma_f64 v[26:27], -v[12:13], v[16:17], 1.0
	v_fmac_f64_e32 v[16:17], v[16:17], v[26:27]
	v_fma_f64 v[26:27], -v[12:13], v[16:17], 1.0
	v_fmac_f64_e32 v[16:17], v[16:17], v[26:27]
	v_div_scale_f64 v[26:27], vcc, v[32:33], v[38:39], v[32:33]
	v_mul_f64 v[28:29], v[26:27], v[16:17]
	v_fma_f64 v[12:13], -v[12:13], v[28:29], v[26:27]
	v_cndmask_b32_e64 v9, v34, v1, s[0:1]
	s_nop 0
	v_div_fmas_f64 v[12:13], v[12:13], v[16:17], v[28:29]
	v_div_fixup_f64 v[12:13], v[12:13], v[38:39], v[32:33]
	v_mul_f64 v[16:17], v[18:19], v[18:19]
	v_mul_f64 v[12:13], v[22:23], v[12:13]
	v_mul_f64 v[22:23], v[16:17], 0.5
	v_fmac_f64_e32 v[36:37], s[12:13], v[16:17]
	v_add_f64 v[26:27], -v[22:23], 1.0
	v_fma_f64 v[32:33], v[16:17], v[36:37], s[14:15]
	v_add_f64 v[28:29], -v[26:27], 1.0
	v_fma_f64 v[32:33], v[16:17], v[32:33], s[16:17]
	v_add_f64 v[22:23], v[28:29], -v[22:23]
	v_fma_f64 v[32:33], v[16:17], v[32:33], s[18:19]
	v_mul_f64 v[28:29], v[16:17], v[16:17]
	v_fma_f64 v[32:33], v[16:17], v[32:33], s[20:21]
	v_fma_f64 v[22:23], v[18:19], -v[20:21], v[22:23]
	v_fmac_f64_e32 v[22:23], v[28:29], v[32:33]
	v_fmac_f64_e32 v[30:31], s[22:23], v[16:17]
	v_add_f64 v[22:23], v[26:27], v[22:23]
	v_fma_f64 v[26:27], v[16:17], v[30:31], s[24:25]
	v_fma_f64 v[26:27], v[16:17], v[26:27], s[26:27]
	;; [unrolled: 1-line block ×3, first 2 shown]
	v_mul_f64 v[28:29], v[18:19], -v[16:17]
	v_mul_f64 v[30:31], v[20:21], 0.5
	v_fmac_f64_e32 v[30:31], v[28:29], v[26:27]
	v_fma_f64 v[16:17], v[16:17], v[30:31], -v[20:21]
	v_fmac_f64_e32 v[16:17], s[30:31], v[28:29]
	v_add_f64 v[16:17], v[18:19], -v[16:17]
	v_xor_b32_e32 v1, 0x80000000, v17
	v_and_b32_e32 v17, 1, v15
	v_cmp_eq_u32_e32 vcc, 0, v17
	v_lshlrev_b32_e32 v15, 30, v15
	s_nop 0
	v_cndmask_b32_e32 v1, v1, v23, vcc
	v_cndmask_b32_e32 v16, v16, v22, vcc
	v_bitop3_b32 v1, v1, v15, s33 bitop3:0x78
	v_cndmask_b32_e64 v16, 0, v16, s[0:1]
	v_cndmask_b32_e64 v17, v34, v1, s[0:1]
	s_mov_b32 s0, 0
	s_brev_b32 s1, 8
	v_mov_b32_e32 v1, 0x100
	v_cmp_gt_f64_e32 vcc, s[0:1], v[10:11]
	v_mul_f64 v[12:13], v[12:13], v[16:17]
	v_fmac_f64_e32 v[12:13], v[24:25], v[8:9]
	v_cndmask_b32_e32 v1, 0, v1, vcc
	v_ldexp_f64 v[8:9], v[10:11], v1
	v_rsq_f64_e32 v[10:11], v[8:9]
	v_mov_b32_e32 v1, 0xffffff80
	v_cndmask_b32_e32 v1, 0, v1, vcc
	s_mov_b32 s0, 0x33d43651
	v_mul_f64 v[16:17], v[8:9], v[10:11]
	v_mul_f64 v[10:11], v[10:11], 0.5
	v_fma_f64 v[18:19], -v[10:11], v[16:17], 0.5
	v_fmac_f64_e32 v[16:17], v[16:17], v[18:19]
	v_fma_f64 v[20:21], -v[16:17], v[16:17], v[8:9]
	v_fmac_f64_e32 v[10:11], v[10:11], v[18:19]
	v_fmac_f64_e32 v[16:17], v[20:21], v[10:11]
	v_fma_f64 v[18:19], -v[16:17], v[16:17], v[8:9]
	v_fmac_f64_e32 v[16:17], v[18:19], v[10:11]
	v_ldexp_f64 v[10:11], v[16:17], v1
	v_mov_b32_e32 v1, 0x260
	s_mov_b32 s1, 0x3fe98845
	v_cmp_class_f64_e32 vcc, v[8:9], v1
	v_mul_f64 v[12:13], v[12:13], s[0:1]
	s_nop 0
	v_cndmask_b32_e32 v9, v11, v9, vcc
	v_cndmask_b32_e32 v8, v10, v8, vcc
	v_div_scale_f64 v[10:11], s[0:1], v[8:9], v[8:9], v[12:13]
	v_rcp_f64_e32 v[16:17], v[10:11]
	s_nop 0
	v_fma_f64 v[18:19], -v[10:11], v[16:17], 1.0
	v_fmac_f64_e32 v[16:17], v[16:17], v[18:19]
	v_fma_f64 v[18:19], -v[10:11], v[16:17], 1.0
	v_fmac_f64_e32 v[16:17], v[16:17], v[18:19]
	v_div_scale_f64 v[18:19], vcc, v[12:13], v[8:9], v[12:13]
	v_mul_f64 v[20:21], v[18:19], v[16:17]
	v_fma_f64 v[10:11], -v[10:11], v[20:21], v[18:19]
	s_nop 1
	v_div_fmas_f64 v[10:11], v[10:11], v[16:17], v[20:21]
	v_div_fixup_f64 v[8:9], v[10:11], v[8:9], v[12:13]
.LBB5_35:
	s_or_b64 exec, exec, s[10:11]
	s_mov_b32 s0, 0
	s_mov_b32 s1, 0x40140000
	s_waitcnt vmcnt(0)
	v_cmp_ge_f64_e32 vcc, s[0:1], v[2:3]
                                        ; implicit-def: $vgpr10_vgpr11
	s_and_saveexec_b64 s[0:1], vcc
	s_xor_b64 s[0:1], exec, s[0:1]
	s_cbranch_execz .LBB5_41
; %bb.36:
	v_mov_b32_e32 v10, 0
	v_cmp_neq_f64_e32 vcc, 0, v[2:3]
	v_mov_b32_e32 v11, 0xfff00000
	s_and_saveexec_b64 s[10:11], vcc
	s_cbranch_execz .LBB5_40
; %bb.37:
	v_mov_b32_e32 v10, 0
	v_cmp_nge_f64_e32 vcc, 0, v[2:3]
	v_mov_b32_e32 v11, 0x7ff80000
	s_and_saveexec_b64 s[12:13], vcc
	s_cbranch_execz .LBB5_39
; %bb.38:
	v_mul_f64 v[10:11], v[2:3], v[2:3]
	v_mov_b32_e32 v12, 0x62f9b6c5
	v_mov_b32_e32 v13, 0x41d2d2be
	v_fmac_f64_e32 v[12:13], 0, v[10:11]
	v_mov_b32_e32 v16, 0x58836521
	v_mov_b32_e32 v17, 0xc262d72d
	v_fmac_f64_e32 v[16:17], v[10:11], v[12:13]
	;; [unrolled: 3-line block ×14, first 2 shown]
	v_div_scale_f64 v[12:13], s[14:15], v[18:19], v[18:19], v[16:17]
	v_rcp_f64_e32 v[20:21], v[12:13]
	v_mov_b32_e32 v26, 0xd438c6b
	v_mov_b32_e32 v27, 0x425a52ba
	;; [unrolled: 1-line block ×3, first 2 shown]
	v_fma_f64 v[22:23], -v[12:13], v[20:21], 1.0
	v_fmac_f64_e32 v[20:21], v[20:21], v[22:23]
	v_fma_f64 v[22:23], -v[12:13], v[20:21], 1.0
	v_fmac_f64_e32 v[20:21], v[20:21], v[22:23]
	v_div_scale_f64 v[22:23], vcc, v[16:17], v[18:19], v[16:17]
	v_mul_f64 v[24:25], v[22:23], v[20:21]
	v_fma_f64 v[12:13], -v[12:13], v[24:25], v[22:23]
	v_mov_b32_e32 v22, 0x4cda4fc5
	v_mov_b32_e32 v23, 0xc1cad23c
	v_fmac_f64_e32 v[22:23], 0, v[10:11]
	v_fmac_f64_e32 v[26:27], v[10:11], v[22:23]
	v_mov_b32_e32 v22, 0xe6ccf175
	v_mov_b32_e32 v23, 0xc2d08a92
	v_fmac_f64_e32 v[22:23], v[10:11], v[26:27]
	v_mov_b32_e32 v26, 0x1b7086e7
	v_mov_b32_e32 v27, 0x408366b1
	v_fmac_f64_e32 v[26:27], 0, v[10:11]
	v_mov_b32_e32 v29, 0x410f5eda
	v_fmac_f64_e32 v[28:29], v[10:11], v[26:27]
	v_mov_b32_e32 v26, 0xdc92a1b1
	v_mov_b32_e32 v27, 0x4193e954
	v_fmac_f64_e32 v[26:27], v[10:11], v[28:29]
	v_mov_b32_e32 v28, 0x7befeac1
	;; [unrolled: 3-line block ×7, first 2 shown]
	v_mov_b32_e32 v27, 0x432a2b42
	v_fmac_f64_e32 v[26:27], v[10:11], v[22:23]
	v_div_scale_f64 v[10:11], s[14:15], v[28:29], v[28:29], v[26:27]
	v_rcp_f64_e32 v[22:23], v[10:11]
	v_div_fmas_f64 v[12:13], v[12:13], v[20:21], v[24:25]
	v_div_fixup_f64 v[12:13], v[12:13], v[18:19], v[16:17]
	s_mov_b32 s14, 0x55555555
	v_fma_f64 v[16:17], -v[10:11], v[22:23], 1.0
	v_fmac_f64_e32 v[22:23], v[22:23], v[16:17]
	v_fma_f64 v[16:17], -v[10:11], v[22:23], 1.0
	v_fmac_f64_e32 v[22:23], v[22:23], v[16:17]
	v_div_scale_f64 v[16:17], vcc, v[26:27], v[28:29], v[26:27]
	v_mul_f64 v[18:19], v[16:17], v[22:23]
	v_fma_f64 v[10:11], -v[10:11], v[18:19], v[16:17]
	v_mov_b32_e32 v16, 0x4189822c
	s_nop 0
	v_div_fmas_f64 v[10:11], v[10:11], v[22:23], v[18:19]
	v_div_fixup_f64 v[10:11], v[10:11], v[28:29], v[26:27]
	v_mov_b32_e32 v17, 0xc02d5d2b
	v_mul_f64 v[10:11], v[2:3], v[10:11]
	v_fmac_f64_e32 v[16:17], v[2:3], v[2:3]
	v_mul_f64 v[10:11], v[16:17], v[10:11]
	v_mov_b32_e32 v16, 0x6072a432
	v_mov_b32_e32 v17, 0xc0489bf6
	v_fmac_f64_e32 v[16:17], v[2:3], v[2:3]
	v_mul_f64 v[10:11], v[16:17], v[10:11]
	v_frexp_mant_f64_e32 v[16:17], v[2:3]
	s_mov_b32 s15, 0x3fe55555
	v_cmp_gt_f64_e32 vcc, s[14:15], v[16:17]
	s_mov_b32 s14, 0xbf559e2b
	s_mov_b32 s15, 0x3fc3ab76
	v_cndmask_b32_e64 v15, 0, 1, vcc
	v_ldexp_f64 v[16:17], v[16:17], v15
	v_add_f64 v[18:19], v[16:17], 1.0
	v_rcp_f64_e32 v[20:21], v[18:19]
	v_add_f64 v[24:25], v[18:19], -1.0
	v_add_f64 v[22:23], v[16:17], -1.0
	v_add_f64 v[16:17], v[16:17], -v[24:25]
	v_fma_f64 v[24:25], -v[18:19], v[20:21], 1.0
	v_fmac_f64_e32 v[20:21], v[24:25], v[20:21]
	v_fma_f64 v[24:25], -v[18:19], v[20:21], 1.0
	v_fmac_f64_e32 v[20:21], v[24:25], v[20:21]
	v_mul_f64 v[24:25], v[22:23], v[20:21]
	v_mul_f64 v[26:27], v[18:19], v[24:25]
	v_fma_f64 v[18:19], v[24:25], v[18:19], -v[26:27]
	v_fmac_f64_e32 v[18:19], v[24:25], v[16:17]
	v_add_f64 v[16:17], v[26:27], v[18:19]
	v_add_f64 v[28:29], v[22:23], -v[16:17]
	v_add_f64 v[26:27], v[16:17], -v[26:27]
	;; [unrolled: 1-line block ×5, first 2 shown]
	v_add_f64 v[16:17], v[18:19], v[16:17]
	v_add_f64 v[16:17], v[28:29], v[16:17]
	v_mul_f64 v[16:17], v[20:21], v[16:17]
	v_add_f64 v[18:19], v[24:25], v[16:17]
	v_add_f64 v[20:21], v[18:19], -v[24:25]
	v_add_f64 v[16:17], v[16:17], -v[20:21]
	v_mul_f64 v[20:21], v[18:19], v[18:19]
	v_mov_b32_e32 v22, 0x6b47b09a
	v_mov_b32_e32 v23, 0x3fc38538
	v_fmac_f64_e32 v[22:23], s[14:15], v[20:21]
	v_mov_b32_e32 v24, 0xd7f4df2e
	v_mov_b32_e32 v25, 0x3fc7474d
	v_fmac_f64_e32 v[24:25], v[20:21], v[22:23]
	;; [unrolled: 3-line block ×6, first 2 shown]
	v_ldexp_f64 v[22:23], v[18:19], 1
	v_mul_f64 v[18:19], v[18:19], v[20:21]
	v_mul_f64 v[18:19], v[18:19], v[24:25]
	v_add_f64 v[20:21], v[22:23], v[18:19]
	v_add_f64 v[22:23], v[20:21], -v[22:23]
	v_ldexp_f64 v[16:17], v[16:17], 1
	v_add_f64 v[18:19], v[18:19], -v[22:23]
	v_add_f64 v[16:17], v[16:17], v[18:19]
	v_frexp_exp_i32_f64_e32 v1, v[2:3]
	v_add_f64 v[18:19], v[20:21], v[16:17]
	v_subbrev_co_u32_e32 v1, vcc, 0, v1, vcc
	v_add_f64 v[20:21], v[18:19], -v[20:21]
	s_mov_b32 s14, 0xfefa39ef
	v_add_f64 v[16:17], v[16:17], -v[20:21]
	v_cvt_f64_i32_e32 v[20:21], v1
	s_mov_b32 s15, 0x3fe62e42
	v_mul_f64 v[22:23], v[20:21], s[14:15]
	v_fma_f64 v[24:25], v[20:21], s[14:15], -v[22:23]
	s_mov_b32 s14, 0x3b39803f
	s_mov_b32 s15, 0x3c7abc9e
	v_fmac_f64_e32 v[24:25], s[14:15], v[20:21]
	v_add_f64 v[20:21], v[22:23], v[24:25]
	v_add_f64 v[22:23], v[20:21], -v[22:23]
	v_add_f64 v[22:23], v[24:25], -v[22:23]
	v_add_f64 v[24:25], v[20:21], v[18:19]
	v_add_f64 v[26:27], v[24:25], -v[20:21]
	v_add_f64 v[28:29], v[24:25], -v[26:27]
	v_add_f64 v[20:21], v[20:21], -v[28:29]
	v_add_f64 v[18:19], v[18:19], -v[26:27]
	v_add_f64 v[18:19], v[18:19], v[20:21]
	v_add_f64 v[20:21], v[22:23], v[16:17]
	v_add_f64 v[26:27], v[20:21], -v[22:23]
	v_add_f64 v[28:29], v[20:21], -v[26:27]
	v_add_f64 v[18:19], v[20:21], v[18:19]
	v_add_f64 v[22:23], v[22:23], -v[28:29]
	v_add_f64 v[16:17], v[16:17], -v[26:27]
	v_add_f64 v[20:21], v[24:25], v[18:19]
	v_add_f64 v[16:17], v[16:17], v[22:23]
	v_add_f64 v[22:23], v[20:21], -v[24:25]
	v_div_scale_f64 v[24:25], s[14:15], v[2:3], v[2:3], -1.0
	v_rcp_f64_e32 v[26:27], v[24:25]
	v_add_f64 v[18:19], v[18:19], -v[22:23]
	v_add_f64 v[16:17], v[16:17], v[18:19]
	v_add_f64 v[16:17], v[20:21], v[16:17]
	v_fma_f64 v[18:19], -v[24:25], v[26:27], 1.0
	v_fmac_f64_e32 v[26:27], v[26:27], v[18:19]
	v_fma_f64 v[18:19], -v[24:25], v[26:27], 1.0
	v_fmac_f64_e32 v[26:27], v[26:27], v[18:19]
	v_div_scale_f64 v[18:19], vcc, -1.0, v[2:3], -1.0
	v_mul_f64 v[20:21], v[18:19], v[26:27]
	v_fma_f64 v[18:19], -v[24:25], v[20:21], v[18:19]
	s_mov_b32 s14, 0x6dc9c883
	s_nop 0
	v_div_fmas_f64 v[18:19], v[18:19], v[26:27], v[20:21]
	v_div_fixup_f64 v[18:19], v[18:19], v[2:3], -1.0
	v_fmac_f64_e32 v[18:19], v[10:11], v[16:17]
	s_mov_b32 s15, 0x3fe45f30
	v_mul_f64 v[10:11], v[18:19], s[14:15]
	v_fmac_f64_e32 v[10:11], v[2:3], v[12:13]
.LBB5_39:
	s_or_b64 exec, exec, s[12:13]
.LBB5_40:
	s_or_b64 exec, exec, s[10:11]
.LBB5_41:
	s_andn2_saveexec_b64 s[10:11], s[0:1]
	s_cbranch_execz .LBB5_51
; %bb.42:
	s_mov_b32 s0, 0x7f3321d2
	s_mov_b32 s1, 0xc002d97c
	v_add_f64 v[10:11], v[2:3], s[0:1]
	s_mov_b32 s0, 0
	s_mov_b32 s1, 0x41d00000
	v_cmp_nlt_f64_e64 s[12:13], |v[10:11]|, s[0:1]
	v_trig_preop_f64 v[26:27], |v[10:11]|, 0
	v_trig_preop_f64 v[24:25], |v[10:11]|, 1
	;; [unrolled: 1-line block ×3, first 2 shown]
                                        ; implicit-def: $vgpr1
                                        ; implicit-def: $vgpr12_vgpr13
                                        ; implicit-def: $vgpr16_vgpr17
	s_and_saveexec_b64 s[0:1], s[12:13]
	s_xor_b64 s[14:15], exec, s[0:1]
	s_cbranch_execz .LBB5_44
; %bb.43:
	s_mov_b32 s0, 0
	s_mov_b32 s1, 0x7b000000
	s_movk_i32 s16, 0xff80
	v_and_b32_e32 v1, 0x7fffffff, v11
	v_ldexp_f64 v[12:13], |v[10:11]|, s16
	v_cmp_ge_f64_e64 vcc, |v[10:11]|, s[0:1]
	s_mov_b32 s0, 0
	s_mov_b32 s1, 0x7ff00000
	v_cndmask_b32_e32 v13, v1, v13, vcc
	v_cndmask_b32_e32 v12, v10, v12, vcc
	v_mul_f64 v[18:19], v[26:27], v[12:13]
	v_mul_f64 v[16:17], v[24:25], v[12:13]
	v_fma_f64 v[20:21], v[26:27], v[12:13], -v[18:19]
	v_add_f64 v[28:29], v[16:17], v[20:21]
	v_add_f64 v[36:37], v[28:29], -v[16:17]
	v_add_f64 v[20:21], v[20:21], -v[36:37]
	;; [unrolled: 1-line block ×4, first 2 shown]
	v_add_f64 v[20:21], v[20:21], v[36:37]
	v_fma_f64 v[16:17], v[24:25], v[12:13], -v[16:17]
	v_mul_f64 v[36:37], v[22:23], v[12:13]
	v_add_f64 v[38:39], v[36:37], v[16:17]
	v_add_f64 v[30:31], v[18:19], v[28:29]
	;; [unrolled: 1-line block ×3, first 2 shown]
	v_ldexp_f64 v[32:33], v[30:31], -2
	v_add_f64 v[18:19], v[30:31], -v[18:19]
	v_add_f64 v[30:31], v[40:41], -v[38:39]
	;; [unrolled: 1-line block ×5, first 2 shown]
	v_add_f64 v[20:21], v[20:21], v[30:31]
	v_add_f64 v[30:31], v[38:39], -v[36:37]
	v_add_f64 v[16:17], v[16:17], -v[30:31]
	;; [unrolled: 1-line block ×5, first 2 shown]
	v_add_f64 v[16:17], v[16:17], v[30:31]
	v_fract_f64_e32 v[34:35], v[32:33]
	v_add_f64 v[28:29], v[18:19], v[40:41]
	v_add_f64 v[16:17], v[16:17], v[20:21]
	v_fma_f64 v[12:13], v[22:23], v[12:13], -v[36:37]
	v_add_f64 v[18:19], v[28:29], -v[18:19]
	v_add_f64 v[12:13], v[12:13], v[16:17]
	v_ldexp_f64 v[16:17], v[34:35], 2
	v_cmp_neq_f64_e64 vcc, |v[32:33]|, s[0:1]
	v_add_f64 v[18:19], v[40:41], -v[18:19]
	v_add_f64 v[12:13], v[18:19], v[12:13]
	v_cndmask_b32_e32 v17, 0, v17, vcc
	v_cndmask_b32_e32 v16, 0, v16, vcc
	v_add_f64 v[18:19], v[28:29], v[16:17]
	v_mov_b32_e32 v1, 0x40100000
	v_cmp_gt_f64_e32 vcc, 0, v[18:19]
	v_mov_b32_e32 v18, 0
	v_mov_b32_e32 v15, 0x3ff00000
	v_cndmask_b32_e32 v19, 0, v1, vcc
	v_add_f64 v[16:17], v[16:17], v[18:19]
	v_add_f64 v[20:21], v[28:29], v[16:17]
	v_cvt_i32_f64_e32 v1, v[20:21]
	v_cvt_f64_i32_e32 v[20:21], v1
	v_add_f64 v[16:17], v[16:17], -v[20:21]
	v_add_f64 v[20:21], v[28:29], v[16:17]
	v_add_f64 v[16:17], v[20:21], -v[16:17]
	v_cmp_le_f64_e32 vcc, 0.5, v[20:21]
	v_add_f64 v[16:17], v[28:29], -v[16:17]
	v_add_f64 v[12:13], v[12:13], v[16:17]
	v_cndmask_b32_e32 v19, 0, v15, vcc
	v_addc_co_u32_e64 v1, s[0:1], 0, v1, vcc
	v_add_f64 v[16:17], v[20:21], -v[18:19]
	v_add_f64 v[18:19], v[16:17], v[12:13]
	s_mov_b32 s0, 0x54442d18
	v_add_f64 v[16:17], v[18:19], -v[16:17]
	s_mov_b32 s1, 0x3ff921fb
	v_add_f64 v[12:13], v[12:13], -v[16:17]
	v_mul_f64 v[16:17], v[18:19], s[0:1]
	s_mov_b32 s16, 0x33145c07
	v_fma_f64 v[20:21], v[18:19], s[0:1], -v[16:17]
	s_mov_b32 s17, 0x3c91a626
	v_fmac_f64_e32 v[20:21], s[16:17], v[18:19]
	v_fmac_f64_e32 v[20:21], s[0:1], v[12:13]
	v_add_f64 v[12:13], v[16:17], v[20:21]
	v_add_f64 v[16:17], v[12:13], -v[16:17]
	v_add_f64 v[16:17], v[20:21], -v[16:17]
	s_andn2_saveexec_b64 s[0:1], s[14:15]
	s_cbranch_execz .LBB5_46
	s_branch .LBB5_45
.LBB5_44:
	s_andn2_saveexec_b64 s[0:1], s[14:15]
	s_cbranch_execz .LBB5_46
.LBB5_45:
	s_mov_b32 s14, 0x6dc9c883
	s_mov_b32 s15, 0x3fe45f30
	v_mul_f64 v[12:13], |v[10:11]|, s[14:15]
	s_mov_b32 s14, 0x54442d18
	v_rndne_f64_e32 v[18:19], v[12:13]
	s_mov_b32 s15, 0xbff921fb
	v_fma_f64 v[12:13], v[18:19], s[14:15], |v[10:11]|
	s_mov_b32 s15, 0xbc91a626
	s_mov_b32 s14, 0x33145c00
	v_mul_f64 v[20:21], v[18:19], s[14:15]
	v_add_f64 v[30:31], v[12:13], v[20:21]
	v_fma_f64 v[16:17], s[14:15], v[18:19], v[12:13]
	s_mov_b32 s15, 0x3c91a626
	v_add_f64 v[12:13], v[12:13], -v[30:31]
	v_fma_f64 v[28:29], s[14:15], v[18:19], v[20:21]
	v_add_f64 v[12:13], v[12:13], v[20:21]
	v_add_f64 v[20:21], v[30:31], -v[16:17]
	v_add_f64 v[12:13], v[20:21], v[12:13]
	s_mov_b32 s14, 0x252049c0
	v_add_f64 v[20:21], v[12:13], -v[28:29]
	s_mov_b32 s15, 0xb97b839a
	v_fmac_f64_e32 v[20:21], s[14:15], v[18:19]
	v_add_f64 v[12:13], v[16:17], v[20:21]
	v_add_f64 v[16:17], v[12:13], -v[16:17]
	v_add_f64 v[16:17], v[20:21], -v[16:17]
	v_cvt_i32_f64_e32 v1, v[18:19]
.LBB5_46:
	s_or_b64 exec, exec, s[0:1]
                                        ; implicit-def: $vgpr15
                                        ; implicit-def: $vgpr18_vgpr19
                                        ; implicit-def: $vgpr20_vgpr21
	s_and_saveexec_b64 s[0:1], s[12:13]
	s_xor_b64 s[12:13], exec, s[0:1]
	s_cbranch_execz .LBB5_48
; %bb.47:
	s_mov_b32 s0, 0
	s_mov_b32 s1, 0x7b000000
	s_movk_i32 s14, 0xff80
	v_and_b32_e32 v15, 0x7fffffff, v11
	v_ldexp_f64 v[18:19], |v[10:11]|, s14
	v_cmp_ge_f64_e64 vcc, |v[10:11]|, s[0:1]
	s_mov_b32 s0, 0
	s_mov_b32 s1, 0x7ff00000
	v_cndmask_b32_e32 v19, v15, v19, vcc
	v_cndmask_b32_e32 v18, v10, v18, vcc
	v_mul_f64 v[28:29], v[26:27], v[18:19]
	v_mul_f64 v[20:21], v[24:25], v[18:19]
	v_fma_f64 v[26:27], v[26:27], v[18:19], -v[28:29]
	v_add_f64 v[30:31], v[20:21], v[26:27]
	v_add_f64 v[38:39], v[30:31], -v[20:21]
	v_add_f64 v[26:27], v[26:27], -v[38:39]
	;; [unrolled: 1-line block ×4, first 2 shown]
	v_fma_f64 v[20:21], v[24:25], v[18:19], -v[20:21]
	v_mul_f64 v[24:25], v[22:23], v[18:19]
	v_add_f64 v[26:27], v[26:27], v[38:39]
	v_add_f64 v[38:39], v[24:25], v[20:21]
	;; [unrolled: 1-line block ×4, first 2 shown]
	v_ldexp_f64 v[34:35], v[32:33], -2
	v_add_f64 v[28:29], v[32:33], -v[28:29]
	v_add_f64 v[32:33], v[40:41], -v[38:39]
	;; [unrolled: 1-line block ×5, first 2 shown]
	v_add_f64 v[26:27], v[26:27], v[32:33]
	v_add_f64 v[32:33], v[38:39], -v[24:25]
	v_add_f64 v[20:21], v[20:21], -v[32:33]
	;; [unrolled: 1-line block ×4, first 2 shown]
	v_add_f64 v[20:21], v[20:21], v[32:33]
	v_fract_f64_e32 v[36:37], v[34:35]
	v_add_f64 v[20:21], v[20:21], v[26:27]
	v_fma_f64 v[18:19], v[22:23], v[18:19], -v[24:25]
	v_add_f64 v[28:29], v[30:31], -v[28:29]
	v_add_f64 v[18:19], v[18:19], v[20:21]
	v_ldexp_f64 v[20:21], v[36:37], 2
	v_cmp_neq_f64_e64 vcc, |v[34:35]|, s[0:1]
	v_add_f64 v[30:31], v[28:29], v[40:41]
	v_mov_b32_e32 v15, 0x40100000
	v_cndmask_b32_e32 v21, 0, v21, vcc
	v_cndmask_b32_e32 v20, 0, v20, vcc
	v_add_f64 v[22:23], v[30:31], v[20:21]
	v_cmp_gt_f64_e32 vcc, 0, v[22:23]
	v_mov_b32_e32 v22, 0
	v_add_f64 v[28:29], v[30:31], -v[28:29]
	v_cndmask_b32_e32 v23, 0, v15, vcc
	v_add_f64 v[20:21], v[20:21], v[22:23]
	v_add_f64 v[24:25], v[30:31], v[20:21]
	v_cvt_i32_f64_e32 v15, v[24:25]
	v_cvt_f64_i32_e32 v[24:25], v15
	v_add_f64 v[20:21], v[20:21], -v[24:25]
	v_add_f64 v[24:25], v[30:31], v[20:21]
	v_add_f64 v[28:29], v[40:41], -v[28:29]
	v_add_f64 v[20:21], v[24:25], -v[20:21]
	v_add_f64 v[18:19], v[28:29], v[18:19]
	v_add_f64 v[20:21], v[30:31], -v[20:21]
	v_add_f64 v[18:19], v[18:19], v[20:21]
	v_cmp_le_f64_e32 vcc, 0.5, v[24:25]
	v_mov_b32_e32 v20, 0x3ff00000
	s_mov_b32 s14, 0x33145c07
	v_cndmask_b32_e32 v23, 0, v20, vcc
	v_addc_co_u32_e64 v15, s[0:1], 0, v15, vcc
	v_add_f64 v[20:21], v[24:25], -v[22:23]
	v_add_f64 v[22:23], v[20:21], v[18:19]
	s_mov_b32 s0, 0x54442d18
	v_add_f64 v[20:21], v[22:23], -v[20:21]
	s_mov_b32 s1, 0x3ff921fb
	v_add_f64 v[18:19], v[18:19], -v[20:21]
	v_mul_f64 v[20:21], v[22:23], s[0:1]
	v_fma_f64 v[24:25], v[22:23], s[0:1], -v[20:21]
	s_mov_b32 s15, 0x3c91a626
	v_fmac_f64_e32 v[24:25], s[14:15], v[22:23]
	v_fmac_f64_e32 v[24:25], s[0:1], v[18:19]
	v_add_f64 v[18:19], v[20:21], v[24:25]
	v_add_f64 v[20:21], v[18:19], -v[20:21]
	v_add_f64 v[20:21], v[24:25], -v[20:21]
	s_andn2_saveexec_b64 s[0:1], s[12:13]
	s_cbranch_execnz .LBB5_49
	s_branch .LBB5_50
.LBB5_48:
	s_andn2_saveexec_b64 s[0:1], s[12:13]
	s_cbranch_execz .LBB5_50
.LBB5_49:
	s_mov_b32 s12, 0x6dc9c883
	s_mov_b32 s13, 0x3fe45f30
	v_mul_f64 v[18:19], |v[10:11]|, s[12:13]
	s_mov_b32 s12, 0x54442d18
	v_rndne_f64_e32 v[22:23], v[18:19]
	s_mov_b32 s13, 0xbff921fb
	v_fma_f64 v[18:19], v[22:23], s[12:13], |v[10:11]|
	s_mov_b32 s13, 0xbc91a626
	s_mov_b32 s12, 0x33145c00
	v_mul_f64 v[24:25], v[22:23], s[12:13]
	v_add_f64 v[28:29], v[18:19], v[24:25]
	v_fma_f64 v[20:21], s[12:13], v[22:23], v[18:19]
	s_mov_b32 s13, 0x3c91a626
	v_add_f64 v[18:19], v[18:19], -v[28:29]
	v_fma_f64 v[26:27], s[12:13], v[22:23], v[24:25]
	v_add_f64 v[18:19], v[18:19], v[24:25]
	v_add_f64 v[24:25], v[28:29], -v[20:21]
	v_add_f64 v[18:19], v[24:25], v[18:19]
	s_mov_b32 s12, 0x252049c0
	v_add_f64 v[24:25], v[18:19], -v[26:27]
	s_mov_b32 s13, 0xb97b839a
	v_fmac_f64_e32 v[24:25], s[12:13], v[22:23]
	v_add_f64 v[18:19], v[20:21], v[24:25]
	v_add_f64 v[20:21], v[18:19], -v[20:21]
	v_add_f64 v[20:21], v[24:25], -v[20:21]
	v_cvt_i32_f64_e32 v15, v[22:23]
.LBB5_50:
	s_or_b64 exec, exec, s[0:1]
	s_mov_b32 s0, 0
	s_mov_b32 s1, 0x40140000
	v_div_scale_f64 v[22:23], s[12:13], v[2:3], v[2:3], s[0:1]
	v_rcp_f64_e32 v[24:25], v[22:23]
	v_mov_b32_e32 v30, 0x5948aa83
	v_mov_b32_e32 v31, 0x3fb19fdd
	;; [unrolled: 1-line block ×3, first 2 shown]
	v_fma_f64 v[26:27], -v[22:23], v[24:25], 1.0
	v_fmac_f64_e32 v[24:25], v[24:25], v[26:27]
	v_fma_f64 v[26:27], -v[22:23], v[24:25], 1.0
	v_fmac_f64_e32 v[24:25], v[24:25], v[26:27]
	v_div_scale_f64 v[26:27], vcc, s[0:1], v[2:3], s[0:1]
	v_mul_f64 v[28:29], v[26:27], v[24:25]
	v_fma_f64 v[22:23], -v[22:23], v[28:29], v[26:27]
	v_mov_b32_e32 v26, 0x4c6c651b
	s_nop 0
	v_div_fmas_f64 v[22:23], v[22:23], v[24:25], v[28:29]
	v_div_fixup_f64 v[22:23], v[22:23], v[2:3], s[0:1]
	v_mul_f64 v[24:25], v[22:23], v[22:23]
	v_mov_b32_e32 v27, 0x3f48f92c
	v_fmac_f64_e32 v[26:27], 0, v[24:25]
	v_mov_b32_e32 v28, 0xa3fec4b6
	v_mov_b32_e32 v29, 0x3fb2b948
	v_fmac_f64_e32 v[28:29], v[24:25], v[26:27]
	v_mov_b32_e32 v26, 0xc21596d6
	;; [unrolled: 3-line block ×6, first 2 shown]
	v_mov_b32_e32 v27, 0x3f42b89b
	v_fmac_f64_e32 v[26:27], 0, v[24:25]
	v_fmac_f64_e32 v[30:31], v[24:25], v[26:27]
	v_mov_b32_e32 v26, 0xb850eed6
	v_mov_b32_e32 v27, 0x3ff1aea9
	v_fmac_f64_e32 v[26:27], v[24:25], v[30:31]
	v_mov_b32_e32 v30, 0xf7d251a1
	v_mov_b32_e32 v31, 0x40144ba2
	;; [unrolled: 3-line block ×4, first 2 shown]
	v_fmac_f64_e32 v[30:31], v[24:25], v[26:27]
	v_fma_f64 v[26:27], v[24:25], v[30:31], 1.0
	v_mov_b32_e32 v30, 0x6b70ba40
	v_mov_b32_e32 v31, 0x3faa27fa
	v_fmac_f64_e32 v[30:31], 0, v[24:25]
	v_mov_b32_e32 v33, 0x4013edb5
	v_fmac_f64_e32 v[32:33], v[24:25], v[30:31]
	v_mov_b32_e32 v30, 0x9acf1c67
	v_mov_b32_e32 v31, 0x4052f4b9
	v_fmac_f64_e32 v[30:31], v[24:25], v[32:33]
	v_mov_b32_e32 v32, 0x47aa180d
	;; [unrolled: 3-line block ×12, first 2 shown]
	v_mov_b32_e32 v35, 0x40a61462
	v_fma_f64 v[28:29], v[24:25], v[28:29], 1.0
	v_fmac_f64_e32 v[34:35], v[24:25], v[30:31]
	v_div_scale_f64 v[30:31], s[0:1], v[26:27], v[26:27], v[28:29]
	v_rcp_f64_e32 v[36:37], v[30:31]
	v_mov_b32_e32 v38, 0x6ae75997
	v_mov_b32_e32 v39, 0x4075017f
	v_fmac_f64_e32 v[38:39], v[24:25], v[34:35]
	v_fma_f64 v[24:25], -v[30:31], v[36:37], 1.0
	v_fmac_f64_e32 v[36:37], v[36:37], v[24:25]
	v_fma_f64 v[24:25], -v[30:31], v[36:37], 1.0
	v_fmac_f64_e32 v[36:37], v[36:37], v[24:25]
	v_div_scale_f64 v[24:25], vcc, v[28:29], v[26:27], v[28:29]
	v_mul_f64 v[34:35], v[24:25], v[36:37]
	v_fma_f64 v[24:25], -v[30:31], v[34:35], v[24:25]
	s_mov_b32 s0, 0x9037ab78
	s_nop 0
	v_div_fmas_f64 v[24:25], v[24:25], v[36:37], v[34:35]
	s_mov_b32 s1, 0x3e21eeb6
	s_mov_b32 s12, 0x46cc5e42
	v_div_fixup_f64 v[24:25], v[24:25], v[26:27], v[28:29]
	v_mul_f64 v[26:27], v[12:13], v[12:13]
	s_mov_b32 s13, 0xbda907db
	v_mov_b64_e32 v[36:37], s[0:1]
	s_mov_b32 s14, 0xa17f65f6
	v_mul_f64 v[28:29], v[26:27], 0.5
	v_fma_f64 v[40:41], s[12:13], v[26:27], v[36:37]
	s_mov_b32 s15, 0xbe927e4f
	s_mov_b32 s16, 0x19f4ec90
	v_add_f64 v[30:31], -v[28:29], 1.0
	v_fma_f64 v[40:41], v[26:27], v[40:41], s[14:15]
	s_mov_b32 s17, 0x3efa01a0
	s_mov_b32 s18, 0x16c16967
	v_add_f64 v[34:35], -v[30:31], 1.0
	v_fma_f64 v[40:41], v[26:27], v[40:41], s[16:17]
	s_mov_b32 s19, 0xbf56c16c
	s_mov_b32 s20, 0x55555555
	v_add_f64 v[28:29], v[34:35], -v[28:29]
	v_fma_f64 v[40:41], v[26:27], v[40:41], s[18:19]
	s_mov_b32 s21, 0x3fa55555
	v_mul_f64 v[34:35], v[26:27], v[26:27]
	v_fma_f64 v[40:41], v[26:27], v[40:41], s[20:21]
	v_fma_f64 v[28:29], v[12:13], -v[16:17], v[28:29]
	s_mov_b32 s0, 0xb42fdfa7
	v_fmac_f64_e32 v[28:29], v[34:35], v[40:41]
	s_mov_b32 s1, 0xbe5ae600
	s_mov_b32 s22, 0xf9a43bb8
	v_add_f64 v[28:29], v[30:31], v[28:29]
	s_mov_b32 s23, 0x3de5e0b2
	v_mov_b64_e32 v[30:31], s[0:1]
	s_mov_b32 s24, 0x796cde01
	v_fma_f64 v[34:35], s[22:23], v[26:27], v[30:31]
	s_mov_b32 s25, 0x3ec71de3
	s_mov_b32 s26, 0x19e83e5c
	v_fma_f64 v[34:35], v[26:27], v[34:35], s[24:25]
	s_mov_b32 s27, 0xbf2a01a0
	;; [unrolled: 3-line block ×3, first 2 shown]
	v_fma_f64 v[34:35], v[26:27], v[34:35], s[28:29]
	v_mul_f64 v[40:41], v[12:13], -v[26:27]
	v_mul_f64 v[42:43], v[16:17], 0.5
	v_fmac_f64_e32 v[42:43], v[40:41], v[34:35]
	v_fma_f64 v[16:17], v[26:27], v[42:43], -v[16:17]
	s_mov_b32 s31, 0xbfc55555
	s_mov_b32 s30, s20
	v_fmac_f64_e32 v[16:17], s[30:31], v[40:41]
	v_add_f64 v[12:13], v[12:13], -v[16:17]
	v_and_b32_e32 v16, 1, v1
	v_cmp_eq_u32_e32 vcc, 0, v16
	v_lshlrev_b32_e32 v1, 30, v1
	v_xor_b32_e32 v1, v1, v11
	v_cndmask_b32_e32 v26, v28, v12, vcc
	v_cndmask_b32_e32 v12, v29, v13, vcc
	s_brev_b32 s33, 1
	v_bitop3_b32 v1, v12, v1, s33 bitop3:0x78
	v_div_scale_f64 v[12:13], s[0:1], v[38:39], v[38:39], v[32:33]
	v_rcp_f64_e32 v[16:17], v[12:13]
	s_movk_i32 s34, 0x1f8
	v_cmp_class_f64_e64 s[0:1], v[10:11], s34
	v_mov_b32_e32 v34, 0x7ff80000
	s_nop 0
	v_cndmask_b32_e64 v10, 0, v26, s[0:1]
	v_fma_f64 v[26:27], -v[12:13], v[16:17], 1.0
	v_fmac_f64_e32 v[16:17], v[16:17], v[26:27]
	v_fma_f64 v[26:27], -v[12:13], v[16:17], 1.0
	v_fmac_f64_e32 v[16:17], v[16:17], v[26:27]
	v_div_scale_f64 v[26:27], vcc, v[32:33], v[38:39], v[32:33]
	v_mul_f64 v[28:29], v[26:27], v[16:17]
	v_fma_f64 v[12:13], -v[12:13], v[28:29], v[26:27]
	v_cndmask_b32_e64 v11, v34, v1, s[0:1]
	s_nop 0
	v_div_fmas_f64 v[12:13], v[12:13], v[16:17], v[28:29]
	v_div_fixup_f64 v[12:13], v[12:13], v[38:39], v[32:33]
	v_mul_f64 v[16:17], v[18:19], v[18:19]
	v_mul_f64 v[12:13], v[22:23], v[12:13]
	v_mul_f64 v[22:23], v[16:17], 0.5
	v_fmac_f64_e32 v[36:37], s[12:13], v[16:17]
	v_add_f64 v[26:27], -v[22:23], 1.0
	v_fma_f64 v[32:33], v[16:17], v[36:37], s[14:15]
	v_add_f64 v[28:29], -v[26:27], 1.0
	v_fma_f64 v[32:33], v[16:17], v[32:33], s[16:17]
	v_add_f64 v[22:23], v[28:29], -v[22:23]
	v_fma_f64 v[32:33], v[16:17], v[32:33], s[18:19]
	v_mul_f64 v[28:29], v[16:17], v[16:17]
	v_fma_f64 v[32:33], v[16:17], v[32:33], s[20:21]
	v_fma_f64 v[22:23], v[18:19], -v[20:21], v[22:23]
	v_fmac_f64_e32 v[22:23], v[28:29], v[32:33]
	v_fmac_f64_e32 v[30:31], s[22:23], v[16:17]
	v_add_f64 v[22:23], v[26:27], v[22:23]
	v_fma_f64 v[26:27], v[16:17], v[30:31], s[24:25]
	v_fma_f64 v[26:27], v[16:17], v[26:27], s[26:27]
	;; [unrolled: 1-line block ×3, first 2 shown]
	v_mul_f64 v[28:29], v[18:19], -v[16:17]
	v_mul_f64 v[30:31], v[20:21], 0.5
	v_fmac_f64_e32 v[30:31], v[28:29], v[26:27]
	v_fma_f64 v[16:17], v[16:17], v[30:31], -v[20:21]
	v_fmac_f64_e32 v[16:17], s[30:31], v[28:29]
	v_add_f64 v[16:17], v[18:19], -v[16:17]
	v_xor_b32_e32 v1, 0x80000000, v17
	v_and_b32_e32 v17, 1, v15
	v_cmp_eq_u32_e32 vcc, 0, v17
	v_lshlrev_b32_e32 v15, 30, v15
	s_nop 0
	v_cndmask_b32_e32 v1, v1, v23, vcc
	v_cndmask_b32_e32 v16, v16, v22, vcc
	v_bitop3_b32 v1, v1, v15, s33 bitop3:0x78
	v_cndmask_b32_e64 v16, 0, v16, s[0:1]
	v_cndmask_b32_e64 v17, v34, v1, s[0:1]
	s_mov_b32 s0, 0
	s_brev_b32 s1, 8
	v_mov_b32_e32 v1, 0x100
	v_cmp_gt_f64_e32 vcc, s[0:1], v[2:3]
	v_mul_f64 v[12:13], v[12:13], v[16:17]
	v_fmac_f64_e32 v[12:13], v[24:25], v[10:11]
	v_cndmask_b32_e32 v1, 0, v1, vcc
	v_ldexp_f64 v[2:3], v[2:3], v1
	v_rsq_f64_e32 v[10:11], v[2:3]
	v_mov_b32_e32 v1, 0xffffff80
	v_cndmask_b32_e32 v1, 0, v1, vcc
	s_mov_b32 s0, 0x33d43651
	v_mul_f64 v[16:17], v[2:3], v[10:11]
	v_mul_f64 v[10:11], v[10:11], 0.5
	v_fma_f64 v[18:19], -v[10:11], v[16:17], 0.5
	v_fmac_f64_e32 v[16:17], v[16:17], v[18:19]
	v_fma_f64 v[20:21], -v[16:17], v[16:17], v[2:3]
	v_fmac_f64_e32 v[10:11], v[10:11], v[18:19]
	v_fmac_f64_e32 v[16:17], v[20:21], v[10:11]
	v_fma_f64 v[18:19], -v[16:17], v[16:17], v[2:3]
	v_fmac_f64_e32 v[16:17], v[18:19], v[10:11]
	v_ldexp_f64 v[10:11], v[16:17], v1
	v_mov_b32_e32 v1, 0x260
	s_mov_b32 s1, 0x3fe98845
	v_cmp_class_f64_e32 vcc, v[2:3], v1
	v_mul_f64 v[12:13], v[12:13], s[0:1]
	s_nop 0
	v_cndmask_b32_e32 v3, v11, v3, vcc
	v_cndmask_b32_e32 v2, v10, v2, vcc
	v_div_scale_f64 v[10:11], s[0:1], v[2:3], v[2:3], v[12:13]
	v_rcp_f64_e32 v[16:17], v[10:11]
	s_nop 0
	v_fma_f64 v[18:19], -v[10:11], v[16:17], 1.0
	v_fmac_f64_e32 v[16:17], v[16:17], v[18:19]
	v_fma_f64 v[18:19], -v[10:11], v[16:17], 1.0
	v_fmac_f64_e32 v[16:17], v[16:17], v[18:19]
	v_div_scale_f64 v[18:19], vcc, v[12:13], v[2:3], v[12:13]
	v_mul_f64 v[20:21], v[18:19], v[16:17]
	v_fma_f64 v[10:11], -v[10:11], v[20:21], v[18:19]
	s_nop 1
	v_div_fmas_f64 v[10:11], v[10:11], v[16:17], v[20:21]
	v_div_fixup_f64 v[10:11], v[10:11], v[2:3], v[12:13]
.LBB5_51:
	s_or_b64 exec, exec, s[10:11]
	s_mov_b32 s0, 0
	s_mov_b32 s1, 0x40140000
	v_cmp_ge_f64_e32 vcc, s[0:1], v[4:5]
	s_and_saveexec_b64 s[0:1], vcc
	s_xor_b64 s[0:1], exec, s[0:1]
	s_cbranch_execz .LBB5_57
; %bb.52:
	v_mov_b32_e32 v12, 0
	v_cmp_neq_f64_e32 vcc, 0, v[4:5]
	v_mov_b32_e32 v13, 0xfff00000
	s_and_saveexec_b64 s[10:11], vcc
	s_cbranch_execz .LBB5_56
; %bb.53:
	v_mov_b32_e32 v12, 0
	v_cmp_nge_f64_e32 vcc, 0, v[4:5]
	v_mov_b32_e32 v13, 0x7ff80000
	s_and_saveexec_b64 s[12:13], vcc
	s_cbranch_execz .LBB5_55
; %bb.54:
	v_mul_f64 v[2:3], v[4:5], v[4:5]
	v_mov_b32_e32 v12, 0x62f9b6c5
	v_mov_b32_e32 v13, 0x41d2d2be
	v_fmac_f64_e32 v[12:13], 0, v[2:3]
	v_mov_b32_e32 v16, 0x58836521
	v_mov_b32_e32 v17, 0xc262d72d
	v_fmac_f64_e32 v[16:17], v[2:3], v[12:13]
	v_mov_b32_e32 v12, 0xb0910fef
	v_mov_b32_e32 v13, 0x42da0954
	v_fmac_f64_e32 v[12:13], v[2:3], v[16:17]
	v_mov_b32_e32 v16, 0x37a1b083
	v_mov_b32_e32 v17, 0xc33ce01a
	v_fmac_f64_e32 v[16:17], v[2:3], v[12:13]
	v_mov_b32_e32 v12, 0xb7366b1
	v_mov_b32_e32 v13, 0x438679ad
	v_fmac_f64_e32 v[12:13], v[2:3], v[16:17]
	v_mov_b32_e32 v16, 0xa93f7ac2
	v_mov_b32_e32 v17, 0x40829269
	v_fmac_f64_e32 v[16:17], 0, v[2:3]
	v_mov_b32_e32 v18, 0xbe58ef7f
	v_mov_b32_e32 v19, 0x410cc160
	v_fmac_f64_e32 v[18:19], v[2:3], v[16:17]
	v_mov_b32_e32 v16, 0xa9c8acee
	v_mov_b32_e32 v17, 0x419184ef
	v_fmac_f64_e32 v[16:17], v[2:3], v[18:19]
	v_mov_b32_e32 v18, 0x906b7b83
	v_mov_b32_e32 v19, 0x421178c3
	v_fmac_f64_e32 v[18:19], v[2:3], v[16:17]
	v_mov_b32_e32 v16, 0xfda99316
	v_mov_b32_e32 v17, 0x428c3f5e
	v_fmac_f64_e32 v[16:17], v[2:3], v[18:19]
	v_mov_b32_e32 v18, 0xd71d1e4e
	v_mov_b32_e32 v19, 0x4301a326
	v_fmac_f64_e32 v[18:19], v[2:3], v[16:17]
	v_mov_b32_e32 v16, 0xc547a488
	v_mov_b32_e32 v17, 0x436e83e3
	v_fmac_f64_e32 v[16:17], v[2:3], v[18:19]
	v_mov_b32_e32 v18, 0x90f6747f
	v_mov_b32_e32 v19, 0x43cb90f1
	v_fmac_f64_e32 v[18:19], v[2:3], v[16:17]
	v_mov_b32_e32 v16, 0x5dde2b17
	v_mov_b32_e32 v17, 0xc3a59e41
	v_fmac_f64_e32 v[16:17], v[2:3], v[12:13]
	v_div_scale_f64 v[12:13], s[14:15], v[18:19], v[18:19], v[16:17]
	v_rcp_f64_e32 v[20:21], v[12:13]
	v_mov_b32_e32 v26, 0xd438c6b
	v_mov_b32_e32 v27, 0x425a52ba
	;; [unrolled: 1-line block ×3, first 2 shown]
	v_fma_f64 v[22:23], -v[12:13], v[20:21], 1.0
	v_fmac_f64_e32 v[20:21], v[20:21], v[22:23]
	v_fma_f64 v[22:23], -v[12:13], v[20:21], 1.0
	v_fmac_f64_e32 v[20:21], v[20:21], v[22:23]
	v_div_scale_f64 v[22:23], vcc, v[16:17], v[18:19], v[16:17]
	v_mul_f64 v[24:25], v[22:23], v[20:21]
	v_fma_f64 v[12:13], -v[12:13], v[24:25], v[22:23]
	v_mov_b32_e32 v22, 0x4cda4fc5
	v_mov_b32_e32 v23, 0xc1cad23c
	v_fmac_f64_e32 v[22:23], 0, v[2:3]
	v_fmac_f64_e32 v[26:27], v[2:3], v[22:23]
	v_mov_b32_e32 v22, 0xe6ccf175
	v_mov_b32_e32 v23, 0xc2d08a92
	v_fmac_f64_e32 v[22:23], v[2:3], v[26:27]
	v_mov_b32_e32 v26, 0x1b7086e7
	v_mov_b32_e32 v27, 0x408366b1
	v_fmac_f64_e32 v[26:27], 0, v[2:3]
	v_mov_b32_e32 v29, 0x410f5eda
	v_fmac_f64_e32 v[28:29], v[2:3], v[26:27]
	v_mov_b32_e32 v26, 0xdc92a1b1
	v_mov_b32_e32 v27, 0x4193e954
	v_fmac_f64_e32 v[26:27], v[2:3], v[28:29]
	v_mov_b32_e32 v28, 0x7befeac1
	v_mov_b32_e32 v29, 0x4214a13f
	v_fmac_f64_e32 v[28:29], v[2:3], v[26:27]
	v_mov_b32_e32 v26, 0x8076ffa8
	v_mov_b32_e32 v27, 0x429146fb
	v_fmac_f64_e32 v[26:27], v[2:3], v[28:29]
	v_mov_b32_e32 v28, 0x3eccf45f
	v_mov_b32_e32 v29, 0x43064b0a
	v_fmac_f64_e32 v[28:29], v[2:3], v[26:27]
	v_mov_b32_e32 v26, 0xf4653f81
	v_mov_b32_e32 v27, 0x4373e0bf
	v_fmac_f64_e32 v[26:27], v[2:3], v[28:29]
	v_mov_b32_e32 v28, 0x76702939
	v_mov_b32_e32 v29, 0x43d27795
	v_fmac_f64_e32 v[28:29], v[2:3], v[26:27]
	v_mov_b32_e32 v26, 0xa697c482
	v_mov_b32_e32 v27, 0x432a2b42
	v_fmac_f64_e32 v[26:27], v[2:3], v[22:23]
	v_div_scale_f64 v[2:3], s[14:15], v[28:29], v[28:29], v[26:27]
	v_rcp_f64_e32 v[22:23], v[2:3]
	v_div_fmas_f64 v[12:13], v[12:13], v[20:21], v[24:25]
	v_div_fixup_f64 v[16:17], v[12:13], v[18:19], v[16:17]
	s_mov_b32 s14, 0x55555555
	v_fma_f64 v[12:13], -v[2:3], v[22:23], 1.0
	v_fmac_f64_e32 v[22:23], v[22:23], v[12:13]
	v_fma_f64 v[12:13], -v[2:3], v[22:23], 1.0
	v_fmac_f64_e32 v[22:23], v[22:23], v[12:13]
	v_div_scale_f64 v[12:13], vcc, v[26:27], v[28:29], v[26:27]
	v_mul_f64 v[18:19], v[12:13], v[22:23]
	v_fma_f64 v[2:3], -v[2:3], v[18:19], v[12:13]
	v_mov_b32_e32 v12, 0x4189822c
	s_nop 0
	v_div_fmas_f64 v[2:3], v[2:3], v[22:23], v[18:19]
	v_div_fixup_f64 v[2:3], v[2:3], v[28:29], v[26:27]
	v_mov_b32_e32 v13, 0xc02d5d2b
	v_mul_f64 v[2:3], v[4:5], v[2:3]
	v_fmac_f64_e32 v[12:13], v[4:5], v[4:5]
	v_mul_f64 v[2:3], v[12:13], v[2:3]
	v_mov_b32_e32 v12, 0x6072a432
	v_mov_b32_e32 v13, 0xc0489bf6
	v_fmac_f64_e32 v[12:13], v[4:5], v[4:5]
	v_mul_f64 v[2:3], v[12:13], v[2:3]
	v_frexp_mant_f64_e32 v[12:13], v[4:5]
	s_mov_b32 s15, 0x3fe55555
	v_cmp_gt_f64_e32 vcc, s[14:15], v[12:13]
	s_mov_b32 s14, 0xbf559e2b
	s_mov_b32 s15, 0x3fc3ab76
	v_cndmask_b32_e64 v15, 0, 1, vcc
	v_ldexp_f64 v[12:13], v[12:13], v15
	v_add_f64 v[18:19], v[12:13], 1.0
	v_rcp_f64_e32 v[20:21], v[18:19]
	v_add_f64 v[24:25], v[18:19], -1.0
	v_add_f64 v[22:23], v[12:13], -1.0
	v_add_f64 v[12:13], v[12:13], -v[24:25]
	v_fma_f64 v[24:25], -v[18:19], v[20:21], 1.0
	v_fmac_f64_e32 v[20:21], v[24:25], v[20:21]
	v_fma_f64 v[24:25], -v[18:19], v[20:21], 1.0
	v_fmac_f64_e32 v[20:21], v[24:25], v[20:21]
	v_mul_f64 v[24:25], v[22:23], v[20:21]
	v_mul_f64 v[26:27], v[18:19], v[24:25]
	v_fma_f64 v[18:19], v[24:25], v[18:19], -v[26:27]
	v_fmac_f64_e32 v[18:19], v[24:25], v[12:13]
	v_add_f64 v[12:13], v[26:27], v[18:19]
	v_add_f64 v[28:29], v[22:23], -v[12:13]
	v_add_f64 v[26:27], v[12:13], -v[26:27]
	;; [unrolled: 1-line block ×5, first 2 shown]
	v_add_f64 v[12:13], v[18:19], v[12:13]
	v_add_f64 v[12:13], v[28:29], v[12:13]
	v_mul_f64 v[12:13], v[20:21], v[12:13]
	v_add_f64 v[18:19], v[24:25], v[12:13]
	v_add_f64 v[20:21], v[18:19], -v[24:25]
	v_add_f64 v[12:13], v[12:13], -v[20:21]
	v_mul_f64 v[20:21], v[18:19], v[18:19]
	v_mov_b32_e32 v22, 0x6b47b09a
	v_mov_b32_e32 v23, 0x3fc38538
	v_fmac_f64_e32 v[22:23], s[14:15], v[20:21]
	v_mov_b32_e32 v24, 0xd7f4df2e
	v_mov_b32_e32 v25, 0x3fc7474d
	v_fmac_f64_e32 v[24:25], v[20:21], v[22:23]
	v_mov_b32_e32 v22, 0x16291751
	v_mov_b32_e32 v23, 0x3fcc71c0
	v_fmac_f64_e32 v[22:23], v[20:21], v[24:25]
	v_mov_b32_e32 v24, 0x9b27acf1
	v_mov_b32_e32 v25, 0x3fd24924
	v_fmac_f64_e32 v[24:25], v[20:21], v[22:23]
	v_mov_b32_e32 v22, 0x998ef7b6
	v_mov_b32_e32 v23, 0x3fd99999
	v_fmac_f64_e32 v[22:23], v[20:21], v[24:25]
	v_mov_b32_e32 v24, 0x55555780
	v_mov_b32_e32 v25, 0x3fe55555
	v_fmac_f64_e32 v[24:25], v[20:21], v[22:23]
	v_ldexp_f64 v[22:23], v[18:19], 1
	v_mul_f64 v[18:19], v[18:19], v[20:21]
	v_mul_f64 v[18:19], v[18:19], v[24:25]
	v_add_f64 v[20:21], v[22:23], v[18:19]
	v_add_f64 v[22:23], v[20:21], -v[22:23]
	v_ldexp_f64 v[12:13], v[12:13], 1
	v_add_f64 v[18:19], v[18:19], -v[22:23]
	v_add_f64 v[12:13], v[12:13], v[18:19]
	v_frexp_exp_i32_f64_e32 v1, v[4:5]
	v_add_f64 v[18:19], v[20:21], v[12:13]
	v_subbrev_co_u32_e32 v1, vcc, 0, v1, vcc
	v_add_f64 v[20:21], v[18:19], -v[20:21]
	s_mov_b32 s14, 0xfefa39ef
	v_add_f64 v[12:13], v[12:13], -v[20:21]
	v_cvt_f64_i32_e32 v[20:21], v1
	s_mov_b32 s15, 0x3fe62e42
	v_mul_f64 v[22:23], v[20:21], s[14:15]
	v_fma_f64 v[24:25], v[20:21], s[14:15], -v[22:23]
	s_mov_b32 s14, 0x3b39803f
	s_mov_b32 s15, 0x3c7abc9e
	v_fmac_f64_e32 v[24:25], s[14:15], v[20:21]
	v_add_f64 v[20:21], v[22:23], v[24:25]
	v_add_f64 v[22:23], v[20:21], -v[22:23]
	v_add_f64 v[22:23], v[24:25], -v[22:23]
	v_add_f64 v[24:25], v[20:21], v[18:19]
	v_add_f64 v[26:27], v[24:25], -v[20:21]
	v_add_f64 v[28:29], v[24:25], -v[26:27]
	;; [unrolled: 1-line block ×4, first 2 shown]
	v_add_f64 v[18:19], v[18:19], v[20:21]
	v_add_f64 v[20:21], v[22:23], v[12:13]
	v_add_f64 v[26:27], v[20:21], -v[22:23]
	v_add_f64 v[28:29], v[20:21], -v[26:27]
	v_add_f64 v[18:19], v[20:21], v[18:19]
	v_add_f64 v[22:23], v[22:23], -v[28:29]
	v_add_f64 v[12:13], v[12:13], -v[26:27]
	v_add_f64 v[20:21], v[24:25], v[18:19]
	v_add_f64 v[12:13], v[12:13], v[22:23]
	v_add_f64 v[22:23], v[20:21], -v[24:25]
	v_div_scale_f64 v[24:25], s[14:15], v[4:5], v[4:5], -1.0
	v_rcp_f64_e32 v[26:27], v[24:25]
	v_add_f64 v[18:19], v[18:19], -v[22:23]
	v_add_f64 v[12:13], v[12:13], v[18:19]
	v_add_f64 v[12:13], v[20:21], v[12:13]
	v_fma_f64 v[18:19], -v[24:25], v[26:27], 1.0
	v_fmac_f64_e32 v[26:27], v[26:27], v[18:19]
	v_fma_f64 v[18:19], -v[24:25], v[26:27], 1.0
	v_fmac_f64_e32 v[26:27], v[26:27], v[18:19]
	v_div_scale_f64 v[18:19], vcc, -1.0, v[4:5], -1.0
	v_mul_f64 v[20:21], v[18:19], v[26:27]
	v_fma_f64 v[18:19], -v[24:25], v[20:21], v[18:19]
	s_mov_b32 s14, 0x6dc9c883
	s_nop 0
	v_div_fmas_f64 v[18:19], v[18:19], v[26:27], v[20:21]
	v_div_fixup_f64 v[18:19], v[18:19], v[4:5], -1.0
	v_fmac_f64_e32 v[18:19], v[2:3], v[12:13]
	s_mov_b32 s15, 0x3fe45f30
	v_mul_f64 v[12:13], v[18:19], s[14:15]
	v_fmac_f64_e32 v[12:13], v[4:5], v[16:17]
.LBB5_55:
	s_or_b64 exec, exec, s[12:13]
.LBB5_56:
	s_or_b64 exec, exec, s[10:11]
                                        ; implicit-def: $vgpr4_vgpr5
.LBB5_57:
	s_andn2_saveexec_b64 s[10:11], s[0:1]
	s_cbranch_execz .LBB5_67
; %bb.58:
	s_mov_b32 s0, 0x7f3321d2
	s_mov_b32 s1, 0xc002d97c
	v_add_f64 v[2:3], v[4:5], s[0:1]
	s_mov_b32 s0, 0
	s_mov_b32 s1, 0x41d00000
	v_cmp_nlt_f64_e64 s[12:13], |v[2:3]|, s[0:1]
	v_trig_preop_f64 v[26:27], |v[2:3]|, 0
	v_trig_preop_f64 v[24:25], |v[2:3]|, 1
	;; [unrolled: 1-line block ×3, first 2 shown]
                                        ; implicit-def: $vgpr1
                                        ; implicit-def: $vgpr12_vgpr13
                                        ; implicit-def: $vgpr16_vgpr17
	s_and_saveexec_b64 s[0:1], s[12:13]
	s_xor_b64 s[14:15], exec, s[0:1]
	s_cbranch_execz .LBB5_60
; %bb.59:
	s_mov_b32 s0, 0
	s_mov_b32 s1, 0x7b000000
	s_movk_i32 s16, 0xff80
	v_and_b32_e32 v1, 0x7fffffff, v3
	v_ldexp_f64 v[12:13], |v[2:3]|, s16
	v_cmp_ge_f64_e64 vcc, |v[2:3]|, s[0:1]
	s_mov_b32 s0, 0
	s_mov_b32 s1, 0x7ff00000
	v_cndmask_b32_e32 v13, v1, v13, vcc
	v_cndmask_b32_e32 v12, v2, v12, vcc
	v_mul_f64 v[18:19], v[26:27], v[12:13]
	v_mul_f64 v[16:17], v[24:25], v[12:13]
	v_fma_f64 v[20:21], v[26:27], v[12:13], -v[18:19]
	v_add_f64 v[28:29], v[16:17], v[20:21]
	v_add_f64 v[36:37], v[28:29], -v[16:17]
	v_add_f64 v[20:21], v[20:21], -v[36:37]
	;; [unrolled: 1-line block ×4, first 2 shown]
	v_add_f64 v[20:21], v[20:21], v[36:37]
	v_fma_f64 v[16:17], v[24:25], v[12:13], -v[16:17]
	v_mul_f64 v[36:37], v[22:23], v[12:13]
	v_add_f64 v[38:39], v[36:37], v[16:17]
	v_add_f64 v[30:31], v[18:19], v[28:29]
	;; [unrolled: 1-line block ×3, first 2 shown]
	v_ldexp_f64 v[32:33], v[30:31], -2
	v_add_f64 v[18:19], v[30:31], -v[18:19]
	v_add_f64 v[30:31], v[40:41], -v[38:39]
	;; [unrolled: 1-line block ×5, first 2 shown]
	v_add_f64 v[20:21], v[20:21], v[30:31]
	v_add_f64 v[30:31], v[38:39], -v[36:37]
	v_add_f64 v[16:17], v[16:17], -v[30:31]
	;; [unrolled: 1-line block ×5, first 2 shown]
	v_add_f64 v[16:17], v[16:17], v[30:31]
	v_fract_f64_e32 v[34:35], v[32:33]
	v_add_f64 v[28:29], v[18:19], v[40:41]
	v_add_f64 v[16:17], v[16:17], v[20:21]
	v_fma_f64 v[12:13], v[22:23], v[12:13], -v[36:37]
	v_add_f64 v[18:19], v[28:29], -v[18:19]
	v_add_f64 v[12:13], v[12:13], v[16:17]
	v_ldexp_f64 v[16:17], v[34:35], 2
	v_cmp_neq_f64_e64 vcc, |v[32:33]|, s[0:1]
	v_add_f64 v[18:19], v[40:41], -v[18:19]
	v_add_f64 v[12:13], v[18:19], v[12:13]
	v_cndmask_b32_e32 v17, 0, v17, vcc
	v_cndmask_b32_e32 v16, 0, v16, vcc
	v_add_f64 v[18:19], v[28:29], v[16:17]
	v_mov_b32_e32 v1, 0x40100000
	v_cmp_gt_f64_e32 vcc, 0, v[18:19]
	v_mov_b32_e32 v18, 0
	v_mov_b32_e32 v15, 0x3ff00000
	v_cndmask_b32_e32 v19, 0, v1, vcc
	v_add_f64 v[16:17], v[16:17], v[18:19]
	v_add_f64 v[20:21], v[28:29], v[16:17]
	v_cvt_i32_f64_e32 v1, v[20:21]
	v_cvt_f64_i32_e32 v[20:21], v1
	v_add_f64 v[16:17], v[16:17], -v[20:21]
	v_add_f64 v[20:21], v[28:29], v[16:17]
	v_add_f64 v[16:17], v[20:21], -v[16:17]
	v_cmp_le_f64_e32 vcc, 0.5, v[20:21]
	v_add_f64 v[16:17], v[28:29], -v[16:17]
	v_add_f64 v[12:13], v[12:13], v[16:17]
	v_cndmask_b32_e32 v19, 0, v15, vcc
	v_addc_co_u32_e64 v1, s[0:1], 0, v1, vcc
	v_add_f64 v[16:17], v[20:21], -v[18:19]
	v_add_f64 v[18:19], v[16:17], v[12:13]
	s_mov_b32 s0, 0x54442d18
	v_add_f64 v[16:17], v[18:19], -v[16:17]
	s_mov_b32 s1, 0x3ff921fb
	v_add_f64 v[12:13], v[12:13], -v[16:17]
	v_mul_f64 v[16:17], v[18:19], s[0:1]
	s_mov_b32 s16, 0x33145c07
	v_fma_f64 v[20:21], v[18:19], s[0:1], -v[16:17]
	s_mov_b32 s17, 0x3c91a626
	v_fmac_f64_e32 v[20:21], s[16:17], v[18:19]
	v_fmac_f64_e32 v[20:21], s[0:1], v[12:13]
	v_add_f64 v[12:13], v[16:17], v[20:21]
	v_add_f64 v[16:17], v[12:13], -v[16:17]
	v_add_f64 v[16:17], v[20:21], -v[16:17]
	s_andn2_saveexec_b64 s[0:1], s[14:15]
	s_cbranch_execz .LBB5_62
	s_branch .LBB5_61
.LBB5_60:
	s_andn2_saveexec_b64 s[0:1], s[14:15]
	s_cbranch_execz .LBB5_62
.LBB5_61:
	s_mov_b32 s14, 0x6dc9c883
	s_mov_b32 s15, 0x3fe45f30
	v_mul_f64 v[12:13], |v[2:3]|, s[14:15]
	s_mov_b32 s14, 0x54442d18
	v_rndne_f64_e32 v[18:19], v[12:13]
	s_mov_b32 s15, 0xbff921fb
	v_fma_f64 v[12:13], v[18:19], s[14:15], |v[2:3]|
	s_mov_b32 s15, 0xbc91a626
	s_mov_b32 s14, 0x33145c00
	v_mul_f64 v[20:21], v[18:19], s[14:15]
	v_add_f64 v[30:31], v[12:13], v[20:21]
	v_fma_f64 v[16:17], s[14:15], v[18:19], v[12:13]
	s_mov_b32 s15, 0x3c91a626
	v_add_f64 v[12:13], v[12:13], -v[30:31]
	v_fma_f64 v[28:29], s[14:15], v[18:19], v[20:21]
	v_add_f64 v[12:13], v[12:13], v[20:21]
	v_add_f64 v[20:21], v[30:31], -v[16:17]
	v_add_f64 v[12:13], v[20:21], v[12:13]
	s_mov_b32 s14, 0x252049c0
	v_add_f64 v[20:21], v[12:13], -v[28:29]
	s_mov_b32 s15, 0xb97b839a
	v_fmac_f64_e32 v[20:21], s[14:15], v[18:19]
	v_add_f64 v[12:13], v[16:17], v[20:21]
	v_add_f64 v[16:17], v[12:13], -v[16:17]
	v_add_f64 v[16:17], v[20:21], -v[16:17]
	v_cvt_i32_f64_e32 v1, v[18:19]
.LBB5_62:
	s_or_b64 exec, exec, s[0:1]
                                        ; implicit-def: $vgpr15
                                        ; implicit-def: $vgpr18_vgpr19
                                        ; implicit-def: $vgpr20_vgpr21
	s_and_saveexec_b64 s[0:1], s[12:13]
	s_xor_b64 s[12:13], exec, s[0:1]
	s_cbranch_execz .LBB5_64
; %bb.63:
	s_mov_b32 s0, 0
	s_mov_b32 s1, 0x7b000000
	s_movk_i32 s14, 0xff80
	v_and_b32_e32 v15, 0x7fffffff, v3
	v_ldexp_f64 v[18:19], |v[2:3]|, s14
	v_cmp_ge_f64_e64 vcc, |v[2:3]|, s[0:1]
	s_mov_b32 s0, 0
	s_mov_b32 s1, 0x7ff00000
	v_cndmask_b32_e32 v19, v15, v19, vcc
	v_cndmask_b32_e32 v18, v2, v18, vcc
	v_mul_f64 v[28:29], v[26:27], v[18:19]
	v_mul_f64 v[20:21], v[24:25], v[18:19]
	v_fma_f64 v[26:27], v[26:27], v[18:19], -v[28:29]
	v_add_f64 v[30:31], v[20:21], v[26:27]
	v_add_f64 v[38:39], v[30:31], -v[20:21]
	v_add_f64 v[26:27], v[26:27], -v[38:39]
	;; [unrolled: 1-line block ×4, first 2 shown]
	v_fma_f64 v[20:21], v[24:25], v[18:19], -v[20:21]
	v_mul_f64 v[24:25], v[22:23], v[18:19]
	v_add_f64 v[26:27], v[26:27], v[38:39]
	v_add_f64 v[38:39], v[24:25], v[20:21]
	;; [unrolled: 1-line block ×4, first 2 shown]
	v_ldexp_f64 v[34:35], v[32:33], -2
	v_add_f64 v[28:29], v[32:33], -v[28:29]
	v_add_f64 v[32:33], v[40:41], -v[38:39]
	v_add_f64 v[26:27], v[26:27], -v[32:33]
	v_add_f64 v[32:33], v[40:41], -v[32:33]
	v_add_f64 v[32:33], v[38:39], -v[32:33]
	v_add_f64 v[26:27], v[26:27], v[32:33]
	v_add_f64 v[32:33], v[38:39], -v[24:25]
	v_add_f64 v[20:21], v[20:21], -v[32:33]
	;; [unrolled: 1-line block ×4, first 2 shown]
	v_add_f64 v[20:21], v[20:21], v[32:33]
	v_fract_f64_e32 v[36:37], v[34:35]
	v_add_f64 v[20:21], v[20:21], v[26:27]
	v_fma_f64 v[18:19], v[22:23], v[18:19], -v[24:25]
	v_add_f64 v[28:29], v[30:31], -v[28:29]
	v_add_f64 v[18:19], v[18:19], v[20:21]
	v_ldexp_f64 v[20:21], v[36:37], 2
	v_cmp_neq_f64_e64 vcc, |v[34:35]|, s[0:1]
	v_add_f64 v[30:31], v[28:29], v[40:41]
	v_mov_b32_e32 v15, 0x40100000
	v_cndmask_b32_e32 v21, 0, v21, vcc
	v_cndmask_b32_e32 v20, 0, v20, vcc
	v_add_f64 v[22:23], v[30:31], v[20:21]
	v_cmp_gt_f64_e32 vcc, 0, v[22:23]
	v_mov_b32_e32 v22, 0
	v_add_f64 v[28:29], v[30:31], -v[28:29]
	v_cndmask_b32_e32 v23, 0, v15, vcc
	v_add_f64 v[20:21], v[20:21], v[22:23]
	v_add_f64 v[24:25], v[30:31], v[20:21]
	v_cvt_i32_f64_e32 v15, v[24:25]
	v_cvt_f64_i32_e32 v[24:25], v15
	v_add_f64 v[20:21], v[20:21], -v[24:25]
	v_add_f64 v[24:25], v[30:31], v[20:21]
	v_add_f64 v[28:29], v[40:41], -v[28:29]
	v_add_f64 v[20:21], v[24:25], -v[20:21]
	v_add_f64 v[18:19], v[28:29], v[18:19]
	v_add_f64 v[20:21], v[30:31], -v[20:21]
	v_add_f64 v[18:19], v[18:19], v[20:21]
	v_cmp_le_f64_e32 vcc, 0.5, v[24:25]
	v_mov_b32_e32 v20, 0x3ff00000
	s_mov_b32 s14, 0x33145c07
	v_cndmask_b32_e32 v23, 0, v20, vcc
	v_addc_co_u32_e64 v15, s[0:1], 0, v15, vcc
	v_add_f64 v[20:21], v[24:25], -v[22:23]
	v_add_f64 v[22:23], v[20:21], v[18:19]
	s_mov_b32 s0, 0x54442d18
	v_add_f64 v[20:21], v[22:23], -v[20:21]
	s_mov_b32 s1, 0x3ff921fb
	v_add_f64 v[18:19], v[18:19], -v[20:21]
	v_mul_f64 v[20:21], v[22:23], s[0:1]
	v_fma_f64 v[24:25], v[22:23], s[0:1], -v[20:21]
	s_mov_b32 s15, 0x3c91a626
	v_fmac_f64_e32 v[24:25], s[14:15], v[22:23]
	v_fmac_f64_e32 v[24:25], s[0:1], v[18:19]
	v_add_f64 v[18:19], v[20:21], v[24:25]
	v_add_f64 v[20:21], v[18:19], -v[20:21]
	v_add_f64 v[20:21], v[24:25], -v[20:21]
	s_andn2_saveexec_b64 s[0:1], s[12:13]
	s_cbranch_execnz .LBB5_65
	s_branch .LBB5_66
.LBB5_64:
	s_andn2_saveexec_b64 s[0:1], s[12:13]
	s_cbranch_execz .LBB5_66
.LBB5_65:
	s_mov_b32 s12, 0x6dc9c883
	s_mov_b32 s13, 0x3fe45f30
	v_mul_f64 v[18:19], |v[2:3]|, s[12:13]
	s_mov_b32 s12, 0x54442d18
	v_rndne_f64_e32 v[22:23], v[18:19]
	s_mov_b32 s13, 0xbff921fb
	v_fma_f64 v[18:19], v[22:23], s[12:13], |v[2:3]|
	s_mov_b32 s13, 0xbc91a626
	s_mov_b32 s12, 0x33145c00
	v_mul_f64 v[24:25], v[22:23], s[12:13]
	v_add_f64 v[28:29], v[18:19], v[24:25]
	v_fma_f64 v[20:21], s[12:13], v[22:23], v[18:19]
	s_mov_b32 s13, 0x3c91a626
	v_add_f64 v[18:19], v[18:19], -v[28:29]
	v_fma_f64 v[26:27], s[12:13], v[22:23], v[24:25]
	v_add_f64 v[18:19], v[18:19], v[24:25]
	v_add_f64 v[24:25], v[28:29], -v[20:21]
	v_add_f64 v[18:19], v[24:25], v[18:19]
	s_mov_b32 s12, 0x252049c0
	v_add_f64 v[24:25], v[18:19], -v[26:27]
	s_mov_b32 s13, 0xb97b839a
	v_fmac_f64_e32 v[24:25], s[12:13], v[22:23]
	v_add_f64 v[18:19], v[20:21], v[24:25]
	v_add_f64 v[20:21], v[18:19], -v[20:21]
	v_add_f64 v[20:21], v[24:25], -v[20:21]
	v_cvt_i32_f64_e32 v15, v[22:23]
.LBB5_66:
	s_or_b64 exec, exec, s[0:1]
	s_mov_b32 s0, 0
	s_mov_b32 s1, 0x40140000
	v_div_scale_f64 v[22:23], s[12:13], v[4:5], v[4:5], s[0:1]
	v_rcp_f64_e32 v[24:25], v[22:23]
	v_mov_b32_e32 v30, 0x5948aa83
	v_mov_b32_e32 v31, 0x3fb19fdd
	;; [unrolled: 1-line block ×3, first 2 shown]
	v_fma_f64 v[26:27], -v[22:23], v[24:25], 1.0
	v_fmac_f64_e32 v[24:25], v[24:25], v[26:27]
	v_fma_f64 v[26:27], -v[22:23], v[24:25], 1.0
	v_fmac_f64_e32 v[24:25], v[24:25], v[26:27]
	v_div_scale_f64 v[26:27], vcc, s[0:1], v[4:5], s[0:1]
	v_mul_f64 v[28:29], v[26:27], v[24:25]
	v_fma_f64 v[22:23], -v[22:23], v[28:29], v[26:27]
	v_mov_b32_e32 v26, 0x4c6c651b
	s_nop 0
	v_div_fmas_f64 v[22:23], v[22:23], v[24:25], v[28:29]
	v_div_fixup_f64 v[22:23], v[22:23], v[4:5], s[0:1]
	v_mul_f64 v[24:25], v[22:23], v[22:23]
	v_mov_b32_e32 v27, 0x3f48f92c
	v_fmac_f64_e32 v[26:27], 0, v[24:25]
	v_mov_b32_e32 v28, 0xa3fec4b6
	v_mov_b32_e32 v29, 0x3fb2b948
	v_fmac_f64_e32 v[28:29], v[24:25], v[26:27]
	v_mov_b32_e32 v26, 0xc21596d6
	;; [unrolled: 3-line block ×6, first 2 shown]
	v_mov_b32_e32 v27, 0x3f42b89b
	v_fmac_f64_e32 v[26:27], 0, v[24:25]
	v_fmac_f64_e32 v[30:31], v[24:25], v[26:27]
	v_mov_b32_e32 v26, 0xb850eed6
	v_mov_b32_e32 v27, 0x3ff1aea9
	v_fmac_f64_e32 v[26:27], v[24:25], v[30:31]
	v_mov_b32_e32 v30, 0xf7d251a1
	v_mov_b32_e32 v31, 0x40144ba2
	;; [unrolled: 3-line block ×4, first 2 shown]
	v_fmac_f64_e32 v[30:31], v[24:25], v[26:27]
	v_fma_f64 v[26:27], v[24:25], v[30:31], 1.0
	v_mov_b32_e32 v30, 0x6b70ba40
	v_mov_b32_e32 v31, 0x3faa27fa
	v_fmac_f64_e32 v[30:31], 0, v[24:25]
	v_mov_b32_e32 v33, 0x4013edb5
	v_fmac_f64_e32 v[32:33], v[24:25], v[30:31]
	v_mov_b32_e32 v30, 0x9acf1c67
	v_mov_b32_e32 v31, 0x4052f4b9
	v_fmac_f64_e32 v[30:31], v[24:25], v[32:33]
	v_mov_b32_e32 v32, 0x47aa180d
	;; [unrolled: 3-line block ×12, first 2 shown]
	v_mov_b32_e32 v35, 0x40a61462
	v_fma_f64 v[28:29], v[24:25], v[28:29], 1.0
	v_fmac_f64_e32 v[34:35], v[24:25], v[30:31]
	v_div_scale_f64 v[30:31], s[0:1], v[26:27], v[26:27], v[28:29]
	v_rcp_f64_e32 v[36:37], v[30:31]
	v_mov_b32_e32 v38, 0x6ae75997
	v_mov_b32_e32 v39, 0x4075017f
	v_fmac_f64_e32 v[38:39], v[24:25], v[34:35]
	v_fma_f64 v[24:25], -v[30:31], v[36:37], 1.0
	v_fmac_f64_e32 v[36:37], v[36:37], v[24:25]
	v_fma_f64 v[24:25], -v[30:31], v[36:37], 1.0
	v_fmac_f64_e32 v[36:37], v[36:37], v[24:25]
	v_div_scale_f64 v[24:25], vcc, v[28:29], v[26:27], v[28:29]
	v_mul_f64 v[34:35], v[24:25], v[36:37]
	v_fma_f64 v[24:25], -v[30:31], v[34:35], v[24:25]
	s_mov_b32 s0, 0x9037ab78
	s_nop 0
	v_div_fmas_f64 v[24:25], v[24:25], v[36:37], v[34:35]
	s_mov_b32 s1, 0x3e21eeb6
	s_mov_b32 s12, 0x46cc5e42
	v_div_fixup_f64 v[24:25], v[24:25], v[26:27], v[28:29]
	v_mul_f64 v[26:27], v[12:13], v[12:13]
	s_mov_b32 s13, 0xbda907db
	v_mov_b64_e32 v[36:37], s[0:1]
	s_mov_b32 s14, 0xa17f65f6
	v_mul_f64 v[28:29], v[26:27], 0.5
	v_fma_f64 v[40:41], s[12:13], v[26:27], v[36:37]
	s_mov_b32 s15, 0xbe927e4f
	s_mov_b32 s16, 0x19f4ec90
	v_add_f64 v[30:31], -v[28:29], 1.0
	v_fma_f64 v[40:41], v[26:27], v[40:41], s[14:15]
	s_mov_b32 s17, 0x3efa01a0
	s_mov_b32 s18, 0x16c16967
	v_add_f64 v[34:35], -v[30:31], 1.0
	v_fma_f64 v[40:41], v[26:27], v[40:41], s[16:17]
	s_mov_b32 s19, 0xbf56c16c
	s_mov_b32 s20, 0x55555555
	v_add_f64 v[28:29], v[34:35], -v[28:29]
	v_fma_f64 v[40:41], v[26:27], v[40:41], s[18:19]
	s_mov_b32 s21, 0x3fa55555
	v_mul_f64 v[34:35], v[26:27], v[26:27]
	v_fma_f64 v[40:41], v[26:27], v[40:41], s[20:21]
	v_fma_f64 v[28:29], v[12:13], -v[16:17], v[28:29]
	s_mov_b32 s0, 0xb42fdfa7
	v_fmac_f64_e32 v[28:29], v[34:35], v[40:41]
	s_mov_b32 s1, 0xbe5ae600
	s_mov_b32 s22, 0xf9a43bb8
	v_add_f64 v[28:29], v[30:31], v[28:29]
	s_mov_b32 s23, 0x3de5e0b2
	v_mov_b64_e32 v[30:31], s[0:1]
	s_mov_b32 s24, 0x796cde01
	v_fma_f64 v[34:35], s[22:23], v[26:27], v[30:31]
	s_mov_b32 s25, 0x3ec71de3
	s_mov_b32 s26, 0x19e83e5c
	v_fma_f64 v[34:35], v[26:27], v[34:35], s[24:25]
	s_mov_b32 s27, 0xbf2a01a0
	;; [unrolled: 3-line block ×3, first 2 shown]
	v_fma_f64 v[34:35], v[26:27], v[34:35], s[28:29]
	v_mul_f64 v[40:41], v[12:13], -v[26:27]
	v_mul_f64 v[42:43], v[16:17], 0.5
	v_fmac_f64_e32 v[42:43], v[40:41], v[34:35]
	v_fma_f64 v[16:17], v[26:27], v[42:43], -v[16:17]
	s_mov_b32 s31, 0xbfc55555
	s_mov_b32 s30, s20
	v_fmac_f64_e32 v[16:17], s[30:31], v[40:41]
	v_add_f64 v[12:13], v[12:13], -v[16:17]
	v_and_b32_e32 v16, 1, v1
	v_cmp_eq_u32_e32 vcc, 0, v16
	v_lshlrev_b32_e32 v1, 30, v1
	v_xor_b32_e32 v1, v1, v3
	v_cndmask_b32_e32 v26, v28, v12, vcc
	v_cndmask_b32_e32 v12, v29, v13, vcc
	s_brev_b32 s33, 1
	v_bitop3_b32 v1, v12, v1, s33 bitop3:0x78
	v_div_scale_f64 v[12:13], s[0:1], v[38:39], v[38:39], v[32:33]
	v_rcp_f64_e32 v[16:17], v[12:13]
	s_movk_i32 s34, 0x1f8
	v_cmp_class_f64_e64 s[0:1], v[2:3], s34
	v_mov_b32_e32 v34, 0x7ff80000
	s_nop 0
	v_cndmask_b32_e64 v2, 0, v26, s[0:1]
	v_fma_f64 v[26:27], -v[12:13], v[16:17], 1.0
	v_fmac_f64_e32 v[16:17], v[16:17], v[26:27]
	v_fma_f64 v[26:27], -v[12:13], v[16:17], 1.0
	v_fmac_f64_e32 v[16:17], v[16:17], v[26:27]
	v_div_scale_f64 v[26:27], vcc, v[32:33], v[38:39], v[32:33]
	v_mul_f64 v[28:29], v[26:27], v[16:17]
	v_fma_f64 v[12:13], -v[12:13], v[28:29], v[26:27]
	v_cndmask_b32_e64 v3, v34, v1, s[0:1]
	s_nop 0
	v_div_fmas_f64 v[12:13], v[12:13], v[16:17], v[28:29]
	v_div_fixup_f64 v[12:13], v[12:13], v[38:39], v[32:33]
	v_mul_f64 v[16:17], v[18:19], v[18:19]
	v_mul_f64 v[12:13], v[22:23], v[12:13]
	v_mul_f64 v[22:23], v[16:17], 0.5
	v_fmac_f64_e32 v[36:37], s[12:13], v[16:17]
	v_add_f64 v[26:27], -v[22:23], 1.0
	v_fma_f64 v[32:33], v[16:17], v[36:37], s[14:15]
	v_add_f64 v[28:29], -v[26:27], 1.0
	v_fma_f64 v[32:33], v[16:17], v[32:33], s[16:17]
	v_add_f64 v[22:23], v[28:29], -v[22:23]
	v_fma_f64 v[32:33], v[16:17], v[32:33], s[18:19]
	v_mul_f64 v[28:29], v[16:17], v[16:17]
	v_fma_f64 v[32:33], v[16:17], v[32:33], s[20:21]
	v_fma_f64 v[22:23], v[18:19], -v[20:21], v[22:23]
	v_fmac_f64_e32 v[22:23], v[28:29], v[32:33]
	v_fmac_f64_e32 v[30:31], s[22:23], v[16:17]
	v_add_f64 v[22:23], v[26:27], v[22:23]
	v_fma_f64 v[26:27], v[16:17], v[30:31], s[24:25]
	v_fma_f64 v[26:27], v[16:17], v[26:27], s[26:27]
	v_fma_f64 v[26:27], v[16:17], v[26:27], s[28:29]
	v_mul_f64 v[28:29], v[18:19], -v[16:17]
	v_mul_f64 v[30:31], v[20:21], 0.5
	v_fmac_f64_e32 v[30:31], v[28:29], v[26:27]
	v_fma_f64 v[16:17], v[16:17], v[30:31], -v[20:21]
	v_fmac_f64_e32 v[16:17], s[30:31], v[28:29]
	v_add_f64 v[16:17], v[18:19], -v[16:17]
	v_xor_b32_e32 v1, 0x80000000, v17
	v_and_b32_e32 v17, 1, v15
	v_cmp_eq_u32_e32 vcc, 0, v17
	v_lshlrev_b32_e32 v15, 30, v15
	s_nop 0
	v_cndmask_b32_e32 v1, v1, v23, vcc
	v_cndmask_b32_e32 v16, v16, v22, vcc
	v_bitop3_b32 v1, v1, v15, s33 bitop3:0x78
	v_cndmask_b32_e64 v16, 0, v16, s[0:1]
	v_cndmask_b32_e64 v17, v34, v1, s[0:1]
	s_mov_b32 s0, 0
	s_brev_b32 s1, 8
	v_mov_b32_e32 v1, 0x100
	v_cmp_gt_f64_e32 vcc, s[0:1], v[4:5]
	v_mul_f64 v[12:13], v[12:13], v[16:17]
	v_fmac_f64_e32 v[12:13], v[24:25], v[2:3]
	v_cndmask_b32_e32 v1, 0, v1, vcc
	v_ldexp_f64 v[2:3], v[4:5], v1
	v_rsq_f64_e32 v[4:5], v[2:3]
	v_mov_b32_e32 v1, 0xffffff80
	v_cndmask_b32_e32 v1, 0, v1, vcc
	s_mov_b32 s0, 0x33d43651
	v_mul_f64 v[16:17], v[2:3], v[4:5]
	v_mul_f64 v[4:5], v[4:5], 0.5
	v_fma_f64 v[18:19], -v[4:5], v[16:17], 0.5
	v_fmac_f64_e32 v[16:17], v[16:17], v[18:19]
	v_fma_f64 v[20:21], -v[16:17], v[16:17], v[2:3]
	v_fmac_f64_e32 v[4:5], v[4:5], v[18:19]
	v_fmac_f64_e32 v[16:17], v[20:21], v[4:5]
	v_fma_f64 v[18:19], -v[16:17], v[16:17], v[2:3]
	v_fmac_f64_e32 v[16:17], v[18:19], v[4:5]
	v_ldexp_f64 v[4:5], v[16:17], v1
	v_mov_b32_e32 v1, 0x260
	s_mov_b32 s1, 0x3fe98845
	v_cmp_class_f64_e32 vcc, v[2:3], v1
	v_mul_f64 v[12:13], v[12:13], s[0:1]
	s_nop 0
	v_cndmask_b32_e32 v3, v5, v3, vcc
	v_cndmask_b32_e32 v2, v4, v2, vcc
	v_div_scale_f64 v[4:5], s[0:1], v[2:3], v[2:3], v[12:13]
	v_rcp_f64_e32 v[16:17], v[4:5]
	s_nop 0
	v_fma_f64 v[18:19], -v[4:5], v[16:17], 1.0
	v_fmac_f64_e32 v[16:17], v[16:17], v[18:19]
	v_fma_f64 v[18:19], -v[4:5], v[16:17], 1.0
	v_fmac_f64_e32 v[16:17], v[16:17], v[18:19]
	v_div_scale_f64 v[18:19], vcc, v[12:13], v[2:3], v[12:13]
	v_mul_f64 v[20:21], v[18:19], v[16:17]
	v_fma_f64 v[4:5], -v[4:5], v[20:21], v[18:19]
	s_nop 1
	v_div_fmas_f64 v[4:5], v[4:5], v[16:17], v[20:21]
	v_div_fixup_f64 v[12:13], v[4:5], v[2:3], v[12:13]
.LBB5_67:
	s_or_b64 exec, exec, s[10:11]
	s_add_u32 s0, s4, s8
	s_addc_u32 s1, s5, s9
	v_mov_b32_e32 v15, 0
	v_lshl_add_u64 v[2:3], s[0:1], 0, v[14:15]
	v_add_co_u32_e32 v2, vcc, 0x1000, v2
	s_nop 1
	v_addc_co_u32_e32 v3, vcc, 0, v3, vcc
	global_store_dwordx4 v14, v[6:9], s[0:1]
	global_store_dwordx4 v[2:3], v[10:13], off
.LBB5_68:
	s_endpgm
	.section	.rodata,"a",@progbits
	.p2align	6, 0x0
	.amdhsa_kernel _ZN2at6native29vectorized_elementwise_kernelILi2EZZZNS0_12_GLOBAL__N_121bessel_y1_kernel_cudaERNS_18TensorIteratorBaseEENKUlvE_clEvENKUlvE_clEvEUldE_St5arrayIPcLm2EEEEviT0_T1_
		.amdhsa_group_segment_fixed_size 0
		.amdhsa_private_segment_fixed_size 0
		.amdhsa_kernarg_size 24
		.amdhsa_user_sgpr_count 2
		.amdhsa_user_sgpr_dispatch_ptr 0
		.amdhsa_user_sgpr_queue_ptr 0
		.amdhsa_user_sgpr_kernarg_segment_ptr 1
		.amdhsa_user_sgpr_dispatch_id 0
		.amdhsa_user_sgpr_kernarg_preload_length 0
		.amdhsa_user_sgpr_kernarg_preload_offset 0
		.amdhsa_user_sgpr_private_segment_size 0
		.amdhsa_uses_dynamic_stack 0
		.amdhsa_enable_private_segment 0
		.amdhsa_system_sgpr_workgroup_id_x 1
		.amdhsa_system_sgpr_workgroup_id_y 0
		.amdhsa_system_sgpr_workgroup_id_z 0
		.amdhsa_system_sgpr_workgroup_info 0
		.amdhsa_system_vgpr_workitem_id 0
		.amdhsa_next_free_vgpr 68
		.amdhsa_next_free_sgpr 41
		.amdhsa_accum_offset 68
		.amdhsa_reserve_vcc 1
		.amdhsa_float_round_mode_32 0
		.amdhsa_float_round_mode_16_64 0
		.amdhsa_float_denorm_mode_32 3
		.amdhsa_float_denorm_mode_16_64 3
		.amdhsa_dx10_clamp 1
		.amdhsa_ieee_mode 1
		.amdhsa_fp16_overflow 0
		.amdhsa_tg_split 0
		.amdhsa_exception_fp_ieee_invalid_op 0
		.amdhsa_exception_fp_denorm_src 0
		.amdhsa_exception_fp_ieee_div_zero 0
		.amdhsa_exception_fp_ieee_overflow 0
		.amdhsa_exception_fp_ieee_underflow 0
		.amdhsa_exception_fp_ieee_inexact 0
		.amdhsa_exception_int_div_zero 0
	.end_amdhsa_kernel
	.section	.text._ZN2at6native29vectorized_elementwise_kernelILi2EZZZNS0_12_GLOBAL__N_121bessel_y1_kernel_cudaERNS_18TensorIteratorBaseEENKUlvE_clEvENKUlvE_clEvEUldE_St5arrayIPcLm2EEEEviT0_T1_,"axG",@progbits,_ZN2at6native29vectorized_elementwise_kernelILi2EZZZNS0_12_GLOBAL__N_121bessel_y1_kernel_cudaERNS_18TensorIteratorBaseEENKUlvE_clEvENKUlvE_clEvEUldE_St5arrayIPcLm2EEEEviT0_T1_,comdat
.Lfunc_end5:
	.size	_ZN2at6native29vectorized_elementwise_kernelILi2EZZZNS0_12_GLOBAL__N_121bessel_y1_kernel_cudaERNS_18TensorIteratorBaseEENKUlvE_clEvENKUlvE_clEvEUldE_St5arrayIPcLm2EEEEviT0_T1_, .Lfunc_end5-_ZN2at6native29vectorized_elementwise_kernelILi2EZZZNS0_12_GLOBAL__N_121bessel_y1_kernel_cudaERNS_18TensorIteratorBaseEENKUlvE_clEvENKUlvE_clEvEUldE_St5arrayIPcLm2EEEEviT0_T1_
                                        ; -- End function
	.set _ZN2at6native29vectorized_elementwise_kernelILi2EZZZNS0_12_GLOBAL__N_121bessel_y1_kernel_cudaERNS_18TensorIteratorBaseEENKUlvE_clEvENKUlvE_clEvEUldE_St5arrayIPcLm2EEEEviT0_T1_.num_vgpr, max(44, .L_ZN2at6native25elementwise_kernel_helperILb0EZZZNS0_12_GLOBAL__N_121bessel_y1_kernel_cudaERNS_18TensorIteratorBaseEENKUlvE_clEvENKUlvE_clEvEUldE_NS0_6memory8policies11unroll_baseILi256ESt5arrayIPcLm2EE23TrivialOffsetCalculatorILi1EjESF_NS8_15LoadWithoutCastENS8_16StoreWithoutCastELi4ELi1EEEEEvT0_T1_.num_vgpr)
	.set _ZN2at6native29vectorized_elementwise_kernelILi2EZZZNS0_12_GLOBAL__N_121bessel_y1_kernel_cudaERNS_18TensorIteratorBaseEENKUlvE_clEvENKUlvE_clEvEUldE_St5arrayIPcLm2EEEEviT0_T1_.num_agpr, max(0, .L_ZN2at6native25elementwise_kernel_helperILb0EZZZNS0_12_GLOBAL__N_121bessel_y1_kernel_cudaERNS_18TensorIteratorBaseEENKUlvE_clEvENKUlvE_clEvEUldE_NS0_6memory8policies11unroll_baseILi256ESt5arrayIPcLm2EE23TrivialOffsetCalculatorILi1EjESF_NS8_15LoadWithoutCastENS8_16StoreWithoutCastELi4ELi1EEEEEvT0_T1_.num_agpr)
	.set _ZN2at6native29vectorized_elementwise_kernelILi2EZZZNS0_12_GLOBAL__N_121bessel_y1_kernel_cudaERNS_18TensorIteratorBaseEENKUlvE_clEvENKUlvE_clEvEUldE_St5arrayIPcLm2EEEEviT0_T1_.numbered_sgpr, max(35, .L_ZN2at6native25elementwise_kernel_helperILb0EZZZNS0_12_GLOBAL__N_121bessel_y1_kernel_cudaERNS_18TensorIteratorBaseEENKUlvE_clEvENKUlvE_clEvEUldE_NS0_6memory8policies11unroll_baseILi256ESt5arrayIPcLm2EE23TrivialOffsetCalculatorILi1EjESF_NS8_15LoadWithoutCastENS8_16StoreWithoutCastELi4ELi1EEEEEvT0_T1_.numbered_sgpr)
	.set _ZN2at6native29vectorized_elementwise_kernelILi2EZZZNS0_12_GLOBAL__N_121bessel_y1_kernel_cudaERNS_18TensorIteratorBaseEENKUlvE_clEvENKUlvE_clEvEUldE_St5arrayIPcLm2EEEEviT0_T1_.num_named_barrier, max(0, .L_ZN2at6native25elementwise_kernel_helperILb0EZZZNS0_12_GLOBAL__N_121bessel_y1_kernel_cudaERNS_18TensorIteratorBaseEENKUlvE_clEvENKUlvE_clEvEUldE_NS0_6memory8policies11unroll_baseILi256ESt5arrayIPcLm2EE23TrivialOffsetCalculatorILi1EjESF_NS8_15LoadWithoutCastENS8_16StoreWithoutCastELi4ELi1EEEEEvT0_T1_.num_named_barrier)
	.set _ZN2at6native29vectorized_elementwise_kernelILi2EZZZNS0_12_GLOBAL__N_121bessel_y1_kernel_cudaERNS_18TensorIteratorBaseEENKUlvE_clEvENKUlvE_clEvEUldE_St5arrayIPcLm2EEEEviT0_T1_.private_seg_size, 0+max(.L_ZN2at6native25elementwise_kernel_helperILb0EZZZNS0_12_GLOBAL__N_121bessel_y1_kernel_cudaERNS_18TensorIteratorBaseEENKUlvE_clEvENKUlvE_clEvEUldE_NS0_6memory8policies11unroll_baseILi256ESt5arrayIPcLm2EE23TrivialOffsetCalculatorILi1EjESF_NS8_15LoadWithoutCastENS8_16StoreWithoutCastELi4ELi1EEEEEvT0_T1_.private_seg_size)
	.set _ZN2at6native29vectorized_elementwise_kernelILi2EZZZNS0_12_GLOBAL__N_121bessel_y1_kernel_cudaERNS_18TensorIteratorBaseEENKUlvE_clEvENKUlvE_clEvEUldE_St5arrayIPcLm2EEEEviT0_T1_.uses_vcc, or(1, .L_ZN2at6native25elementwise_kernel_helperILb0EZZZNS0_12_GLOBAL__N_121bessel_y1_kernel_cudaERNS_18TensorIteratorBaseEENKUlvE_clEvENKUlvE_clEvEUldE_NS0_6memory8policies11unroll_baseILi256ESt5arrayIPcLm2EE23TrivialOffsetCalculatorILi1EjESF_NS8_15LoadWithoutCastENS8_16StoreWithoutCastELi4ELi1EEEEEvT0_T1_.uses_vcc)
	.set _ZN2at6native29vectorized_elementwise_kernelILi2EZZZNS0_12_GLOBAL__N_121bessel_y1_kernel_cudaERNS_18TensorIteratorBaseEENKUlvE_clEvENKUlvE_clEvEUldE_St5arrayIPcLm2EEEEviT0_T1_.uses_flat_scratch, or(0, .L_ZN2at6native25elementwise_kernel_helperILb0EZZZNS0_12_GLOBAL__N_121bessel_y1_kernel_cudaERNS_18TensorIteratorBaseEENKUlvE_clEvENKUlvE_clEvEUldE_NS0_6memory8policies11unroll_baseILi256ESt5arrayIPcLm2EE23TrivialOffsetCalculatorILi1EjESF_NS8_15LoadWithoutCastENS8_16StoreWithoutCastELi4ELi1EEEEEvT0_T1_.uses_flat_scratch)
	.set _ZN2at6native29vectorized_elementwise_kernelILi2EZZZNS0_12_GLOBAL__N_121bessel_y1_kernel_cudaERNS_18TensorIteratorBaseEENKUlvE_clEvENKUlvE_clEvEUldE_St5arrayIPcLm2EEEEviT0_T1_.has_dyn_sized_stack, or(0, .L_ZN2at6native25elementwise_kernel_helperILb0EZZZNS0_12_GLOBAL__N_121bessel_y1_kernel_cudaERNS_18TensorIteratorBaseEENKUlvE_clEvENKUlvE_clEvEUldE_NS0_6memory8policies11unroll_baseILi256ESt5arrayIPcLm2EE23TrivialOffsetCalculatorILi1EjESF_NS8_15LoadWithoutCastENS8_16StoreWithoutCastELi4ELi1EEEEEvT0_T1_.has_dyn_sized_stack)
	.set _ZN2at6native29vectorized_elementwise_kernelILi2EZZZNS0_12_GLOBAL__N_121bessel_y1_kernel_cudaERNS_18TensorIteratorBaseEENKUlvE_clEvENKUlvE_clEvEUldE_St5arrayIPcLm2EEEEviT0_T1_.has_recursion, or(0, .L_ZN2at6native25elementwise_kernel_helperILb0EZZZNS0_12_GLOBAL__N_121bessel_y1_kernel_cudaERNS_18TensorIteratorBaseEENKUlvE_clEvENKUlvE_clEvEUldE_NS0_6memory8policies11unroll_baseILi256ESt5arrayIPcLm2EE23TrivialOffsetCalculatorILi1EjESF_NS8_15LoadWithoutCastENS8_16StoreWithoutCastELi4ELi1EEEEEvT0_T1_.has_recursion)
	.set _ZN2at6native29vectorized_elementwise_kernelILi2EZZZNS0_12_GLOBAL__N_121bessel_y1_kernel_cudaERNS_18TensorIteratorBaseEENKUlvE_clEvENKUlvE_clEvEUldE_St5arrayIPcLm2EEEEviT0_T1_.has_indirect_call, or(0, .L_ZN2at6native25elementwise_kernel_helperILb0EZZZNS0_12_GLOBAL__N_121bessel_y1_kernel_cudaERNS_18TensorIteratorBaseEENKUlvE_clEvENKUlvE_clEvEUldE_NS0_6memory8policies11unroll_baseILi256ESt5arrayIPcLm2EE23TrivialOffsetCalculatorILi1EjESF_NS8_15LoadWithoutCastENS8_16StoreWithoutCastELi4ELi1EEEEEvT0_T1_.has_indirect_call)
	.section	.AMDGPU.csdata,"",@progbits
; Kernel info:
; codeLenInByte = 20684
; TotalNumSgprs: 47
; NumVgprs: 68
; NumAgprs: 0
; TotalNumVgprs: 68
; ScratchSize: 0
; MemoryBound: 0
; FloatMode: 240
; IeeeMode: 1
; LDSByteSize: 0 bytes/workgroup (compile time only)
; SGPRBlocks: 5
; VGPRBlocks: 8
; NumSGPRsForWavesPerEU: 47
; NumVGPRsForWavesPerEU: 68
; AccumOffset: 68
; Occupancy: 7
; WaveLimiterHint : 1
; COMPUTE_PGM_RSRC2:SCRATCH_EN: 0
; COMPUTE_PGM_RSRC2:USER_SGPR: 2
; COMPUTE_PGM_RSRC2:TRAP_HANDLER: 0
; COMPUTE_PGM_RSRC2:TGID_X_EN: 1
; COMPUTE_PGM_RSRC2:TGID_Y_EN: 0
; COMPUTE_PGM_RSRC2:TGID_Z_EN: 0
; COMPUTE_PGM_RSRC2:TIDIG_COMP_CNT: 0
; COMPUTE_PGM_RSRC3_GFX90A:ACCUM_OFFSET: 16
; COMPUTE_PGM_RSRC3_GFX90A:TG_SPLIT: 0
	.section	.text._ZN2at6native27unrolled_elementwise_kernelIZZZNS0_12_GLOBAL__N_121bessel_y1_kernel_cudaERNS_18TensorIteratorBaseEENKUlvE_clEvENKUlvE_clEvEUldE_St5arrayIPcLm2EELi4E23TrivialOffsetCalculatorILi1EjESC_NS0_6memory15LoadWithoutCastENSD_16StoreWithoutCastEEEviT_T0_T2_T3_T4_T5_,"axG",@progbits,_ZN2at6native27unrolled_elementwise_kernelIZZZNS0_12_GLOBAL__N_121bessel_y1_kernel_cudaERNS_18TensorIteratorBaseEENKUlvE_clEvENKUlvE_clEvEUldE_St5arrayIPcLm2EELi4E23TrivialOffsetCalculatorILi1EjESC_NS0_6memory15LoadWithoutCastENSD_16StoreWithoutCastEEEviT_T0_T2_T3_T4_T5_,comdat
	.globl	_ZN2at6native27unrolled_elementwise_kernelIZZZNS0_12_GLOBAL__N_121bessel_y1_kernel_cudaERNS_18TensorIteratorBaseEENKUlvE_clEvENKUlvE_clEvEUldE_St5arrayIPcLm2EELi4E23TrivialOffsetCalculatorILi1EjESC_NS0_6memory15LoadWithoutCastENSD_16StoreWithoutCastEEEviT_T0_T2_T3_T4_T5_ ; -- Begin function _ZN2at6native27unrolled_elementwise_kernelIZZZNS0_12_GLOBAL__N_121bessel_y1_kernel_cudaERNS_18TensorIteratorBaseEENKUlvE_clEvENKUlvE_clEvEUldE_St5arrayIPcLm2EELi4E23TrivialOffsetCalculatorILi1EjESC_NS0_6memory15LoadWithoutCastENSD_16StoreWithoutCastEEEviT_T0_T2_T3_T4_T5_
	.p2align	8
	.type	_ZN2at6native27unrolled_elementwise_kernelIZZZNS0_12_GLOBAL__N_121bessel_y1_kernel_cudaERNS_18TensorIteratorBaseEENKUlvE_clEvENKUlvE_clEvEUldE_St5arrayIPcLm2EELi4E23TrivialOffsetCalculatorILi1EjESC_NS0_6memory15LoadWithoutCastENSD_16StoreWithoutCastEEEviT_T0_T2_T3_T4_T5_,@function
_ZN2at6native27unrolled_elementwise_kernelIZZZNS0_12_GLOBAL__N_121bessel_y1_kernel_cudaERNS_18TensorIteratorBaseEENKUlvE_clEvENKUlvE_clEvEUldE_St5arrayIPcLm2EELi4E23TrivialOffsetCalculatorILi1EjESC_NS0_6memory15LoadWithoutCastENSD_16StoreWithoutCastEEEviT_T0_T2_T3_T4_T5_: ; @_ZN2at6native27unrolled_elementwise_kernelIZZZNS0_12_GLOBAL__N_121bessel_y1_kernel_cudaERNS_18TensorIteratorBaseEENKUlvE_clEvENKUlvE_clEvEUldE_St5arrayIPcLm2EELi4E23TrivialOffsetCalculatorILi1EjESC_NS0_6memory15LoadWithoutCastENSD_16StoreWithoutCastEEEviT_T0_T2_T3_T4_T5_
; %bb.0:
	s_load_dword s3, s[0:1], 0x0
	s_load_dwordx4 s[4:7], s[0:1], 0x8
	s_lshl_b32 s0, s2, 10
	s_mov_b32 s12, s2
	v_mov_b32_e32 v31, v0
	s_waitcnt lgkmcnt(0)
	s_sub_i32 s3, s3, s0
	s_getpc_b64 s[0:1]
	s_add_u32 s0, s0, _ZN2at6native25elementwise_kernel_helperILb0EZZZNS0_12_GLOBAL__N_121bessel_y1_kernel_cudaERNS_18TensorIteratorBaseEENKUlvE_clEvENKUlvE_clEvEUldE_NS0_6memory8policies11unroll_baseILi256ESt5arrayIPcLm2EE23TrivialOffsetCalculatorILi1EjESF_NS8_15LoadWithoutCastENS8_16StoreWithoutCastELi4ELi1EEEEEvT0_T1_@rel32@lo+4
	s_addc_u32 s1, s1, _ZN2at6native25elementwise_kernel_helperILb0EZZZNS0_12_GLOBAL__N_121bessel_y1_kernel_cudaERNS_18TensorIteratorBaseEENKUlvE_clEvENKUlvE_clEvEUldE_NS0_6memory8policies11unroll_baseILi256ESt5arrayIPcLm2EE23TrivialOffsetCalculatorILi1EjESF_NS8_15LoadWithoutCastENS8_16StoreWithoutCastELi4ELi1EEEEEvT0_T1_@rel32@hi+12
	v_mov_b32_e32 v0, s4
	v_mov_b32_e32 v1, s5
	;; [unrolled: 1-line block ×5, first 2 shown]
	s_mov_b32 s32, 0
	s_swappc_b64 s[30:31], s[0:1]
	s_endpgm
	.section	.rodata,"a",@progbits
	.p2align	6, 0x0
	.amdhsa_kernel _ZN2at6native27unrolled_elementwise_kernelIZZZNS0_12_GLOBAL__N_121bessel_y1_kernel_cudaERNS_18TensorIteratorBaseEENKUlvE_clEvENKUlvE_clEvEUldE_St5arrayIPcLm2EELi4E23TrivialOffsetCalculatorILi1EjESC_NS0_6memory15LoadWithoutCastENSD_16StoreWithoutCastEEEviT_T0_T2_T3_T4_T5_
		.amdhsa_group_segment_fixed_size 0
		.amdhsa_private_segment_fixed_size 0
		.amdhsa_kernarg_size 28
		.amdhsa_user_sgpr_count 2
		.amdhsa_user_sgpr_dispatch_ptr 0
		.amdhsa_user_sgpr_queue_ptr 0
		.amdhsa_user_sgpr_kernarg_segment_ptr 1
		.amdhsa_user_sgpr_dispatch_id 0
		.amdhsa_user_sgpr_kernarg_preload_length 0
		.amdhsa_user_sgpr_kernarg_preload_offset 0
		.amdhsa_user_sgpr_private_segment_size 0
		.amdhsa_uses_dynamic_stack 0
		.amdhsa_enable_private_segment 0
		.amdhsa_system_sgpr_workgroup_id_x 1
		.amdhsa_system_sgpr_workgroup_id_y 0
		.amdhsa_system_sgpr_workgroup_id_z 0
		.amdhsa_system_sgpr_workgroup_info 0
		.amdhsa_system_vgpr_workitem_id 0
		.amdhsa_next_free_vgpr 68
		.amdhsa_next_free_sgpr 41
		.amdhsa_accum_offset 68
		.amdhsa_reserve_vcc 1
		.amdhsa_float_round_mode_32 0
		.amdhsa_float_round_mode_16_64 0
		.amdhsa_float_denorm_mode_32 3
		.amdhsa_float_denorm_mode_16_64 3
		.amdhsa_dx10_clamp 1
		.amdhsa_ieee_mode 1
		.amdhsa_fp16_overflow 0
		.amdhsa_tg_split 0
		.amdhsa_exception_fp_ieee_invalid_op 0
		.amdhsa_exception_fp_denorm_src 0
		.amdhsa_exception_fp_ieee_div_zero 0
		.amdhsa_exception_fp_ieee_overflow 0
		.amdhsa_exception_fp_ieee_underflow 0
		.amdhsa_exception_fp_ieee_inexact 0
		.amdhsa_exception_int_div_zero 0
	.end_amdhsa_kernel
	.section	.text._ZN2at6native27unrolled_elementwise_kernelIZZZNS0_12_GLOBAL__N_121bessel_y1_kernel_cudaERNS_18TensorIteratorBaseEENKUlvE_clEvENKUlvE_clEvEUldE_St5arrayIPcLm2EELi4E23TrivialOffsetCalculatorILi1EjESC_NS0_6memory15LoadWithoutCastENSD_16StoreWithoutCastEEEviT_T0_T2_T3_T4_T5_,"axG",@progbits,_ZN2at6native27unrolled_elementwise_kernelIZZZNS0_12_GLOBAL__N_121bessel_y1_kernel_cudaERNS_18TensorIteratorBaseEENKUlvE_clEvENKUlvE_clEvEUldE_St5arrayIPcLm2EELi4E23TrivialOffsetCalculatorILi1EjESC_NS0_6memory15LoadWithoutCastENSD_16StoreWithoutCastEEEviT_T0_T2_T3_T4_T5_,comdat
.Lfunc_end6:
	.size	_ZN2at6native27unrolled_elementwise_kernelIZZZNS0_12_GLOBAL__N_121bessel_y1_kernel_cudaERNS_18TensorIteratorBaseEENKUlvE_clEvENKUlvE_clEvEUldE_St5arrayIPcLm2EELi4E23TrivialOffsetCalculatorILi1EjESC_NS0_6memory15LoadWithoutCastENSD_16StoreWithoutCastEEEviT_T0_T2_T3_T4_T5_, .Lfunc_end6-_ZN2at6native27unrolled_elementwise_kernelIZZZNS0_12_GLOBAL__N_121bessel_y1_kernel_cudaERNS_18TensorIteratorBaseEENKUlvE_clEvENKUlvE_clEvEUldE_St5arrayIPcLm2EELi4E23TrivialOffsetCalculatorILi1EjESC_NS0_6memory15LoadWithoutCastENSD_16StoreWithoutCastEEEviT_T0_T2_T3_T4_T5_
                                        ; -- End function
	.set _ZN2at6native27unrolled_elementwise_kernelIZZZNS0_12_GLOBAL__N_121bessel_y1_kernel_cudaERNS_18TensorIteratorBaseEENKUlvE_clEvENKUlvE_clEvEUldE_St5arrayIPcLm2EELi4E23TrivialOffsetCalculatorILi1EjESC_NS0_6memory15LoadWithoutCastENSD_16StoreWithoutCastEEEviT_T0_T2_T3_T4_T5_.num_vgpr, max(32, .L_ZN2at6native25elementwise_kernel_helperILb0EZZZNS0_12_GLOBAL__N_121bessel_y1_kernel_cudaERNS_18TensorIteratorBaseEENKUlvE_clEvENKUlvE_clEvEUldE_NS0_6memory8policies11unroll_baseILi256ESt5arrayIPcLm2EE23TrivialOffsetCalculatorILi1EjESF_NS8_15LoadWithoutCastENS8_16StoreWithoutCastELi4ELi1EEEEEvT0_T1_.num_vgpr)
	.set _ZN2at6native27unrolled_elementwise_kernelIZZZNS0_12_GLOBAL__N_121bessel_y1_kernel_cudaERNS_18TensorIteratorBaseEENKUlvE_clEvENKUlvE_clEvEUldE_St5arrayIPcLm2EELi4E23TrivialOffsetCalculatorILi1EjESC_NS0_6memory15LoadWithoutCastENSD_16StoreWithoutCastEEEviT_T0_T2_T3_T4_T5_.num_agpr, max(0, .L_ZN2at6native25elementwise_kernel_helperILb0EZZZNS0_12_GLOBAL__N_121bessel_y1_kernel_cudaERNS_18TensorIteratorBaseEENKUlvE_clEvENKUlvE_clEvEUldE_NS0_6memory8policies11unroll_baseILi256ESt5arrayIPcLm2EE23TrivialOffsetCalculatorILi1EjESF_NS8_15LoadWithoutCastENS8_16StoreWithoutCastELi4ELi1EEEEEvT0_T1_.num_agpr)
	.set _ZN2at6native27unrolled_elementwise_kernelIZZZNS0_12_GLOBAL__N_121bessel_y1_kernel_cudaERNS_18TensorIteratorBaseEENKUlvE_clEvENKUlvE_clEvEUldE_St5arrayIPcLm2EELi4E23TrivialOffsetCalculatorILi1EjESC_NS0_6memory15LoadWithoutCastENSD_16StoreWithoutCastEEEviT_T0_T2_T3_T4_T5_.numbered_sgpr, max(33, .L_ZN2at6native25elementwise_kernel_helperILb0EZZZNS0_12_GLOBAL__N_121bessel_y1_kernel_cudaERNS_18TensorIteratorBaseEENKUlvE_clEvENKUlvE_clEvEUldE_NS0_6memory8policies11unroll_baseILi256ESt5arrayIPcLm2EE23TrivialOffsetCalculatorILi1EjESF_NS8_15LoadWithoutCastENS8_16StoreWithoutCastELi4ELi1EEEEEvT0_T1_.numbered_sgpr)
	.set _ZN2at6native27unrolled_elementwise_kernelIZZZNS0_12_GLOBAL__N_121bessel_y1_kernel_cudaERNS_18TensorIteratorBaseEENKUlvE_clEvENKUlvE_clEvEUldE_St5arrayIPcLm2EELi4E23TrivialOffsetCalculatorILi1EjESC_NS0_6memory15LoadWithoutCastENSD_16StoreWithoutCastEEEviT_T0_T2_T3_T4_T5_.num_named_barrier, max(0, .L_ZN2at6native25elementwise_kernel_helperILb0EZZZNS0_12_GLOBAL__N_121bessel_y1_kernel_cudaERNS_18TensorIteratorBaseEENKUlvE_clEvENKUlvE_clEvEUldE_NS0_6memory8policies11unroll_baseILi256ESt5arrayIPcLm2EE23TrivialOffsetCalculatorILi1EjESF_NS8_15LoadWithoutCastENS8_16StoreWithoutCastELi4ELi1EEEEEvT0_T1_.num_named_barrier)
	.set _ZN2at6native27unrolled_elementwise_kernelIZZZNS0_12_GLOBAL__N_121bessel_y1_kernel_cudaERNS_18TensorIteratorBaseEENKUlvE_clEvENKUlvE_clEvEUldE_St5arrayIPcLm2EELi4E23TrivialOffsetCalculatorILi1EjESC_NS0_6memory15LoadWithoutCastENSD_16StoreWithoutCastEEEviT_T0_T2_T3_T4_T5_.private_seg_size, 0+max(.L_ZN2at6native25elementwise_kernel_helperILb0EZZZNS0_12_GLOBAL__N_121bessel_y1_kernel_cudaERNS_18TensorIteratorBaseEENKUlvE_clEvENKUlvE_clEvEUldE_NS0_6memory8policies11unroll_baseILi256ESt5arrayIPcLm2EE23TrivialOffsetCalculatorILi1EjESF_NS8_15LoadWithoutCastENS8_16StoreWithoutCastELi4ELi1EEEEEvT0_T1_.private_seg_size)
	.set _ZN2at6native27unrolled_elementwise_kernelIZZZNS0_12_GLOBAL__N_121bessel_y1_kernel_cudaERNS_18TensorIteratorBaseEENKUlvE_clEvENKUlvE_clEvEUldE_St5arrayIPcLm2EELi4E23TrivialOffsetCalculatorILi1EjESC_NS0_6memory15LoadWithoutCastENSD_16StoreWithoutCastEEEviT_T0_T2_T3_T4_T5_.uses_vcc, or(1, .L_ZN2at6native25elementwise_kernel_helperILb0EZZZNS0_12_GLOBAL__N_121bessel_y1_kernel_cudaERNS_18TensorIteratorBaseEENKUlvE_clEvENKUlvE_clEvEUldE_NS0_6memory8policies11unroll_baseILi256ESt5arrayIPcLm2EE23TrivialOffsetCalculatorILi1EjESF_NS8_15LoadWithoutCastENS8_16StoreWithoutCastELi4ELi1EEEEEvT0_T1_.uses_vcc)
	.set _ZN2at6native27unrolled_elementwise_kernelIZZZNS0_12_GLOBAL__N_121bessel_y1_kernel_cudaERNS_18TensorIteratorBaseEENKUlvE_clEvENKUlvE_clEvEUldE_St5arrayIPcLm2EELi4E23TrivialOffsetCalculatorILi1EjESC_NS0_6memory15LoadWithoutCastENSD_16StoreWithoutCastEEEviT_T0_T2_T3_T4_T5_.uses_flat_scratch, or(0, .L_ZN2at6native25elementwise_kernel_helperILb0EZZZNS0_12_GLOBAL__N_121bessel_y1_kernel_cudaERNS_18TensorIteratorBaseEENKUlvE_clEvENKUlvE_clEvEUldE_NS0_6memory8policies11unroll_baseILi256ESt5arrayIPcLm2EE23TrivialOffsetCalculatorILi1EjESF_NS8_15LoadWithoutCastENS8_16StoreWithoutCastELi4ELi1EEEEEvT0_T1_.uses_flat_scratch)
	.set _ZN2at6native27unrolled_elementwise_kernelIZZZNS0_12_GLOBAL__N_121bessel_y1_kernel_cudaERNS_18TensorIteratorBaseEENKUlvE_clEvENKUlvE_clEvEUldE_St5arrayIPcLm2EELi4E23TrivialOffsetCalculatorILi1EjESC_NS0_6memory15LoadWithoutCastENSD_16StoreWithoutCastEEEviT_T0_T2_T3_T4_T5_.has_dyn_sized_stack, or(0, .L_ZN2at6native25elementwise_kernel_helperILb0EZZZNS0_12_GLOBAL__N_121bessel_y1_kernel_cudaERNS_18TensorIteratorBaseEENKUlvE_clEvENKUlvE_clEvEUldE_NS0_6memory8policies11unroll_baseILi256ESt5arrayIPcLm2EE23TrivialOffsetCalculatorILi1EjESF_NS8_15LoadWithoutCastENS8_16StoreWithoutCastELi4ELi1EEEEEvT0_T1_.has_dyn_sized_stack)
	.set _ZN2at6native27unrolled_elementwise_kernelIZZZNS0_12_GLOBAL__N_121bessel_y1_kernel_cudaERNS_18TensorIteratorBaseEENKUlvE_clEvENKUlvE_clEvEUldE_St5arrayIPcLm2EELi4E23TrivialOffsetCalculatorILi1EjESC_NS0_6memory15LoadWithoutCastENSD_16StoreWithoutCastEEEviT_T0_T2_T3_T4_T5_.has_recursion, or(0, .L_ZN2at6native25elementwise_kernel_helperILb0EZZZNS0_12_GLOBAL__N_121bessel_y1_kernel_cudaERNS_18TensorIteratorBaseEENKUlvE_clEvENKUlvE_clEvEUldE_NS0_6memory8policies11unroll_baseILi256ESt5arrayIPcLm2EE23TrivialOffsetCalculatorILi1EjESF_NS8_15LoadWithoutCastENS8_16StoreWithoutCastELi4ELi1EEEEEvT0_T1_.has_recursion)
	.set _ZN2at6native27unrolled_elementwise_kernelIZZZNS0_12_GLOBAL__N_121bessel_y1_kernel_cudaERNS_18TensorIteratorBaseEENKUlvE_clEvENKUlvE_clEvEUldE_St5arrayIPcLm2EELi4E23TrivialOffsetCalculatorILi1EjESC_NS0_6memory15LoadWithoutCastENSD_16StoreWithoutCastEEEviT_T0_T2_T3_T4_T5_.has_indirect_call, or(0, .L_ZN2at6native25elementwise_kernel_helperILb0EZZZNS0_12_GLOBAL__N_121bessel_y1_kernel_cudaERNS_18TensorIteratorBaseEENKUlvE_clEvENKUlvE_clEvEUldE_NS0_6memory8policies11unroll_baseILi256ESt5arrayIPcLm2EE23TrivialOffsetCalculatorILi1EjESF_NS8_15LoadWithoutCastENS8_16StoreWithoutCastELi4ELi1EEEEEvT0_T1_.has_indirect_call)
	.section	.AMDGPU.csdata,"",@progbits
; Kernel info:
; codeLenInByte = 88
; TotalNumSgprs: 47
; NumVgprs: 68
; NumAgprs: 0
; TotalNumVgprs: 68
; ScratchSize: 0
; MemoryBound: 0
; FloatMode: 240
; IeeeMode: 1
; LDSByteSize: 0 bytes/workgroup (compile time only)
; SGPRBlocks: 5
; VGPRBlocks: 8
; NumSGPRsForWavesPerEU: 47
; NumVGPRsForWavesPerEU: 68
; AccumOffset: 68
; Occupancy: 7
; WaveLimiterHint : 0
; COMPUTE_PGM_RSRC2:SCRATCH_EN: 0
; COMPUTE_PGM_RSRC2:USER_SGPR: 2
; COMPUTE_PGM_RSRC2:TRAP_HANDLER: 0
; COMPUTE_PGM_RSRC2:TGID_X_EN: 1
; COMPUTE_PGM_RSRC2:TGID_Y_EN: 0
; COMPUTE_PGM_RSRC2:TGID_Z_EN: 0
; COMPUTE_PGM_RSRC2:TIDIG_COMP_CNT: 0
; COMPUTE_PGM_RSRC3_GFX90A:ACCUM_OFFSET: 16
; COMPUTE_PGM_RSRC3_GFX90A:TG_SPLIT: 0
	.section	.text._ZN2at6native32elementwise_kernel_manual_unrollILi128ELi4EZNS0_22gpu_kernel_impl_nocastIZZZNS0_12_GLOBAL__N_121bessel_y1_kernel_cudaERNS_18TensorIteratorBaseEENKUlvE_clEvENKUlvE_clEvEUldE_EEvS5_RKT_EUlibE_EEviT1_,"axG",@progbits,_ZN2at6native32elementwise_kernel_manual_unrollILi128ELi4EZNS0_22gpu_kernel_impl_nocastIZZZNS0_12_GLOBAL__N_121bessel_y1_kernel_cudaERNS_18TensorIteratorBaseEENKUlvE_clEvENKUlvE_clEvEUldE_EEvS5_RKT_EUlibE_EEviT1_,comdat
	.globl	_ZN2at6native32elementwise_kernel_manual_unrollILi128ELi4EZNS0_22gpu_kernel_impl_nocastIZZZNS0_12_GLOBAL__N_121bessel_y1_kernel_cudaERNS_18TensorIteratorBaseEENKUlvE_clEvENKUlvE_clEvEUldE_EEvS5_RKT_EUlibE_EEviT1_ ; -- Begin function _ZN2at6native32elementwise_kernel_manual_unrollILi128ELi4EZNS0_22gpu_kernel_impl_nocastIZZZNS0_12_GLOBAL__N_121bessel_y1_kernel_cudaERNS_18TensorIteratorBaseEENKUlvE_clEvENKUlvE_clEvEUldE_EEvS5_RKT_EUlibE_EEviT1_
	.p2align	8
	.type	_ZN2at6native32elementwise_kernel_manual_unrollILi128ELi4EZNS0_22gpu_kernel_impl_nocastIZZZNS0_12_GLOBAL__N_121bessel_y1_kernel_cudaERNS_18TensorIteratorBaseEENKUlvE_clEvENKUlvE_clEvEUldE_EEvS5_RKT_EUlibE_EEviT1_,@function
_ZN2at6native32elementwise_kernel_manual_unrollILi128ELi4EZNS0_22gpu_kernel_impl_nocastIZZZNS0_12_GLOBAL__N_121bessel_y1_kernel_cudaERNS_18TensorIteratorBaseEENKUlvE_clEvENKUlvE_clEvEUldE_EEvS5_RKT_EUlibE_EEviT1_: ; @_ZN2at6native32elementwise_kernel_manual_unrollILi128ELi4EZNS0_22gpu_kernel_impl_nocastIZZZNS0_12_GLOBAL__N_121bessel_y1_kernel_cudaERNS_18TensorIteratorBaseEENKUlvE_clEvENKUlvE_clEvEUldE_EEvS5_RKT_EUlibE_EEviT1_
; %bb.0:
	s_load_dword s55, s[0:1], 0x0
	s_load_dword s33, s[0:1], 0x8
	s_add_u32 s34, s0, 8
	s_addc_u32 s35, s1, 0
	v_lshl_or_b32 v22, s2, 9, v0
	v_or_b32_e32 v16, 0x180, v22
	s_waitcnt lgkmcnt(0)
	s_add_i32 s54, s33, -1
	s_cmp_gt_u32 s54, 1
	v_cmp_le_i32_e32 vcc, s55, v16
	s_cselect_b64 s[36:37], -1, 0
	s_and_saveexec_b64 s[0:1], vcc
	s_xor_b64 s[38:39], exec, s[0:1]
	s_cbranch_execz .LBB7_8
; %bb.1:
	s_load_dwordx4 s[24:27], s[34:35], 0x4
	s_load_dwordx2 s[40:41], s[34:35], 0x14
	s_load_dwordx4 s[20:23], s[34:35], 0xc4
	s_load_dwordx4 s[16:19], s[34:35], 0x148
	s_cmp_lg_u32 s33, 0
	s_cselect_b64 s[46:47], -1, 0
	s_add_u32 s44, s34, 0xc4
	s_addc_u32 s45, s35, 0
	s_min_u32 s56, s54, 15
	s_cmp_gt_u32 s33, 1
	s_cselect_b64 s[42:43], -1, 0
	v_cmp_gt_i32_e32 vcc, s55, v22
	s_and_saveexec_b64 s[48:49], vcc
	s_cbranch_execz .LBB7_15
; %bb.2:
	s_andn2_b64 vcc, exec, s[36:37]
	s_cbranch_vccnz .LBB7_23
; %bb.3:
	s_andn2_b64 vcc, exec, s[46:47]
	s_cbranch_vccnz .LBB7_139
; %bb.4:
	s_add_i32 s58, s56, 1
	s_cmp_eq_u32 s54, 2
	s_cbranch_scc1 .LBB7_141
; %bb.5:
	s_and_b32 s57, s58, 28
	s_mov_b32 s59, 0
	v_mov_b32_e32 v0, 0
	v_mov_b32_e32 v2, 0
	s_mov_b64 s[50:51], s[34:35]
	s_mov_b64 s[52:53], s[44:45]
	v_mov_b32_e32 v4, v22
.LBB7_6:                                ; =>This Inner Loop Header: Depth=1
	s_load_dwordx8 s[8:15], s[50:51], 0x4
	s_load_dwordx4 s[28:31], s[50:51], 0x24
	s_load_dwordx8 s[0:7], s[52:53], 0x0
	s_add_u32 s50, s50, 48
	s_addc_u32 s51, s51, 0
	s_waitcnt lgkmcnt(0)
	v_mul_hi_u32 v1, s9, v4
	v_add_u32_e32 v1, v4, v1
	v_lshrrev_b32_e32 v1, s10, v1
	v_mul_lo_u32 v3, v1, s8
	v_mul_hi_u32 v5, s12, v1
	v_sub_u32_e32 v3, v4, v3
	v_add_u32_e32 v4, v1, v5
	v_lshrrev_b32_e32 v4, s13, v4
	v_mul_lo_u32 v6, v4, s11
	v_mul_hi_u32 v7, s15, v4
	v_sub_u32_e32 v1, v1, v6
	v_add_u32_e32 v6, v4, v7
	v_mul_lo_u32 v5, v3, s1
	v_mul_lo_u32 v3, v3, s0
	;; [unrolled: 1-line block ×4, first 2 shown]
	v_lshrrev_b32_e32 v6, s28, v6
	v_add3_u32 v0, v3, v0, v1
	v_mul_hi_u32 v3, s30, v6
	v_add3_u32 v1, v5, v2, v7
	v_mul_lo_u32 v2, v6, s14
	v_add_u32_e32 v3, v6, v3
	v_sub_u32_e32 v2, v4, v2
	v_lshrrev_b32_e32 v4, s31, v3
	s_add_i32 s59, s59, 4
	v_mul_lo_u32 v3, v4, s29
	s_add_u32 s52, s52, 32
	v_sub_u32_e32 v3, v6, v3
	s_addc_u32 s53, s53, 0
	v_mul_lo_u32 v5, v2, s4
	v_mul_lo_u32 v2, v2, s5
	;; [unrolled: 1-line block ×4, first 2 shown]
	s_cmp_lg_u32 s57, s59
	v_add3_u32 v2, v2, v1, v3
	v_add3_u32 v0, v5, v0, v6
	s_cbranch_scc1 .LBB7_6
; %bb.7:
	v_mov_b32_e32 v1, v2
	s_branch .LBB7_142
.LBB7_8:
	s_andn2_saveexec_b64 s[0:1], s[38:39]
	s_cbranch_execz .LBB7_200
.LBB7_9:
	v_cndmask_b32_e64 v0, 0, 1, s[36:37]
	v_cmp_ne_u32_e64 s[0:1], 1, v0
	s_andn2_b64 vcc, exec, s[36:37]
	s_cbranch_vccnz .LBB7_22
; %bb.10:
	s_cmp_lg_u32 s33, 0
	s_waitcnt lgkmcnt(0)
	s_mov_b32 s26, 0
	s_cbranch_scc0 .LBB7_25
; %bb.11:
	s_min_u32 s27, s54, 15
	s_add_i32 s27, s27, 1
	s_cmp_eq_u32 s54, 2
	s_cbranch_scc1 .LBB7_26
; %bb.12:
	s_and_b32 s26, s27, 28
	s_add_u32 s2, s34, 0xc4
	s_addc_u32 s3, s35, 0
	s_mov_b32 s28, 0
	v_mov_b32_e32 v0, 0
	v_mov_b32_e32 v10, 0
	s_mov_b64 s[24:25], s[34:35]
	v_mov_b32_e32 v2, v22
.LBB7_13:                               ; =>This Inner Loop Header: Depth=1
	s_load_dwordx8 s[12:19], s[24:25], 0x4
	s_load_dwordx4 s[20:23], s[24:25], 0x24
	s_load_dwordx8 s[4:11], s[2:3], 0x0
	s_add_u32 s24, s24, 48
	s_addc_u32 s25, s25, 0
	s_waitcnt lgkmcnt(0)
	v_mul_hi_u32 v1, s13, v2
	v_add_u32_e32 v1, v2, v1
	v_lshrrev_b32_e32 v1, s14, v1
	v_mul_lo_u32 v3, v1, s12
	v_mul_hi_u32 v4, s16, v1
	v_sub_u32_e32 v2, v2, v3
	v_add_u32_e32 v3, v1, v4
	v_lshrrev_b32_e32 v3, s17, v3
	v_mul_lo_u32 v5, v3, s15
	v_mul_hi_u32 v6, s19, v3
	v_sub_u32_e32 v1, v1, v5
	v_add_u32_e32 v5, v3, v6
	v_mul_lo_u32 v4, v2, s5
	v_mul_lo_u32 v2, v2, s4
	;; [unrolled: 1-line block ×4, first 2 shown]
	v_lshrrev_b32_e32 v5, s20, v5
	v_add3_u32 v0, v2, v0, v1
	v_add3_u32 v1, v4, v10, v6
	v_mul_lo_u32 v2, v5, s18
	v_mul_hi_u32 v4, s22, v5
	v_sub_u32_e32 v2, v3, v2
	v_add_u32_e32 v3, v5, v4
	v_mul_lo_u32 v4, v2, s8
	v_mul_lo_u32 v6, v2, s9
	v_lshrrev_b32_e32 v2, s23, v3
	s_add_i32 s28, s28, 4
	v_mul_lo_u32 v3, v2, s21
	s_add_u32 s2, s2, 32
	v_sub_u32_e32 v3, v5, v3
	s_addc_u32 s3, s3, 0
	v_mul_lo_u32 v5, v3, s10
	v_mul_lo_u32 v3, v3, s11
	s_cmp_lg_u32 s26, s28
	v_add3_u32 v10, v6, v1, v3
	v_add3_u32 v0, v4, v0, v5
	s_cbranch_scc1 .LBB7_13
; %bb.14:
	v_mov_b32_e32 v1, v10
	s_and_b32 s6, s27, 3
	s_cmp_eq_u32 s6, 0
	s_cbranch_scc0 .LBB7_27
	s_branch .LBB7_29
.LBB7_15:
	s_or_b64 exec, exec, s[48:49]
	v_cmp_gt_i32_e32 vcc, s55, v22
	s_and_saveexec_b64 s[48:49], vcc
	s_cbranch_execz .LBB7_165
.LBB7_16:
	s_andn2_b64 vcc, exec, s[36:37]
	s_cbranch_vccnz .LBB7_24
; %bb.17:
	s_andn2_b64 vcc, exec, s[46:47]
	s_cbranch_vccnz .LBB7_140
; %bb.18:
	s_add_i32 s58, s56, 1
	s_cmp_eq_u32 s54, 2
	s_cbranch_scc1 .LBB7_174
; %bb.19:
	s_and_b32 s57, s58, 28
	s_mov_b32 s59, 0
	v_mov_b32_e32 v0, 0
	v_mov_b32_e32 v2, 0
	s_mov_b64 s[50:51], s[34:35]
	s_mov_b64 s[52:53], s[44:45]
	v_mov_b32_e32 v4, v22
.LBB7_20:                               ; =>This Inner Loop Header: Depth=1
	s_load_dwordx8 s[8:15], s[50:51], 0x4
	s_load_dwordx4 s[28:31], s[50:51], 0x24
	s_load_dwordx8 s[0:7], s[52:53], 0x0
	s_add_u32 s50, s50, 48
	s_addc_u32 s51, s51, 0
	s_waitcnt lgkmcnt(0)
	v_mul_hi_u32 v1, s9, v4
	v_add_u32_e32 v1, v4, v1
	v_lshrrev_b32_e32 v1, s10, v1
	v_mul_lo_u32 v3, v1, s8
	v_mul_hi_u32 v5, s12, v1
	v_sub_u32_e32 v3, v4, v3
	v_add_u32_e32 v4, v1, v5
	v_lshrrev_b32_e32 v4, s13, v4
	v_mul_lo_u32 v6, v4, s11
	v_mul_hi_u32 v7, s15, v4
	v_sub_u32_e32 v1, v1, v6
	v_add_u32_e32 v6, v4, v7
	v_mul_lo_u32 v5, v3, s1
	v_mul_lo_u32 v3, v3, s0
	;; [unrolled: 1-line block ×4, first 2 shown]
	v_lshrrev_b32_e32 v6, s28, v6
	v_add3_u32 v0, v3, v0, v1
	v_mul_hi_u32 v3, s30, v6
	v_add3_u32 v1, v5, v2, v7
	v_mul_lo_u32 v2, v6, s14
	v_add_u32_e32 v3, v6, v3
	v_sub_u32_e32 v2, v4, v2
	v_lshrrev_b32_e32 v4, s31, v3
	s_add_i32 s59, s59, 4
	v_mul_lo_u32 v3, v4, s29
	s_add_u32 s52, s52, 32
	v_sub_u32_e32 v3, v6, v3
	s_addc_u32 s53, s53, 0
	v_mul_lo_u32 v5, v2, s4
	v_mul_lo_u32 v2, v2, s5
	;; [unrolled: 1-line block ×4, first 2 shown]
	s_cmp_eq_u32 s57, s59
	v_add3_u32 v2, v2, v1, v3
	v_add3_u32 v0, v5, v0, v6
	s_cbranch_scc0 .LBB7_20
; %bb.21:
	v_mov_b32_e32 v1, v2
	s_branch .LBB7_175
.LBB7_22:
                                        ; implicit-def: $vgpr10
                                        ; implicit-def: $vgpr0
	s_branch .LBB7_30
.LBB7_23:
                                        ; implicit-def: $vgpr2
                                        ; implicit-def: $vgpr0
	s_branch .LBB7_146
.LBB7_24:
                                        ; implicit-def: $vgpr2
                                        ; implicit-def: $vgpr0
	s_branch .LBB7_179
.LBB7_25:
	v_mov_b32_e32 v10, 0
	v_mov_b32_e32 v0, 0
	s_branch .LBB7_29
.LBB7_26:
	v_mov_b32_e32 v0, 0
                                        ; implicit-def: $vgpr10
	v_mov_b32_e32 v1, v0
	v_mov_b32_e32 v2, v22
	s_and_b32 s6, s27, 3
	s_cmp_eq_u32 s6, 0
	s_cbranch_scc1 .LBB7_29
.LBB7_27:
	s_lshl_b32 s2, s26, 3
	s_add_u32 s2, s34, s2
	s_addc_u32 s3, s35, 0
	s_add_u32 s2, s2, 0xc4
	s_addc_u32 s3, s3, 0
	s_mul_i32 s4, s26, 12
	s_add_u32 s4, s34, s4
	s_addc_u32 s5, s35, 0
.LBB7_28:                               ; =>This Inner Loop Header: Depth=1
	s_load_dwordx2 s[8:9], s[4:5], 0x4
	s_load_dword s7, s[4:5], 0xc
	s_load_dwordx2 s[10:11], s[2:3], 0x0
	v_mov_b32_e32 v4, v1
	s_add_u32 s4, s4, 12
	s_waitcnt lgkmcnt(0)
	v_mul_hi_u32 v1, s9, v2
	v_add_u32_e32 v1, v2, v1
	v_lshrrev_b32_e32 v1, s7, v1
	s_addc_u32 s5, s5, 0
	v_mul_lo_u32 v3, v1, s8
	s_add_u32 s2, s2, 8
	v_sub_u32_e32 v3, v2, v3
	s_addc_u32 s3, s3, 0
	s_add_i32 s6, s6, -1
	v_mov_b32_e32 v2, v1
	v_mad_u64_u32 v[10:11], s[8:9], v3, s11, v[4:5]
	v_mad_u64_u32 v[0:1], s[8:9], v3, s10, v[0:1]
	s_cmp_lg_u32 s6, 0
	v_mov_b32_e32 v1, v10
	s_cbranch_scc1 .LBB7_28
.LBB7_29:
	s_cbranch_execnz .LBB7_32
.LBB7_30:
	s_load_dwordx4 s[4:7], s[34:35], 0x4
	s_load_dwordx2 s[2:3], s[34:35], 0xc4
	s_cmp_lt_u32 s33, 2
	s_waitcnt lgkmcnt(0)
	v_mul_hi_u32 v0, s5, v22
	v_add_u32_e32 v0, v22, v0
	v_lshrrev_b32_e32 v1, s6, v0
	v_mul_lo_u32 v0, v1, s4
	v_sub_u32_e32 v0, v22, v0
	v_mul_lo_u32 v10, v0, s3
	v_mul_lo_u32 v0, v0, s2
	s_cbranch_scc1 .LBB7_32
; %bb.31:
	s_load_dwordx4 s[4:7], s[34:35], 0x10
	s_load_dwordx2 s[2:3], s[34:35], 0xcc
	s_waitcnt lgkmcnt(0)
	v_mul_hi_u32 v2, s5, v1
	v_add_u32_e32 v2, v1, v2
	v_lshrrev_b32_e32 v2, s6, v2
	v_mul_lo_u32 v2, v2, s4
	v_sub_u32_e32 v2, v1, v2
	v_mad_u64_u32 v[0:1], s[4:5], v2, s2, v[0:1]
	v_mad_u64_u32 v[10:11], s[2:3], v2, s3, v[10:11]
.LBB7_32:
	s_and_b64 vcc, exec, s[0:1]
	v_add_u32_e32 v4, 0x80, v22
	s_cbranch_vccnz .LBB7_38
; %bb.33:
	s_cmp_lg_u32 s33, 0
	s_waitcnt lgkmcnt(0)
	s_mov_b32 s26, 0
	s_cbranch_scc0 .LBB7_39
; %bb.34:
	s_min_u32 s27, s54, 15
	s_add_i32 s27, s27, 1
	s_cmp_eq_u32 s54, 2
	s_cbranch_scc1 .LBB7_40
; %bb.35:
	s_and_b32 s26, s27, 28
	s_add_u32 s2, s34, 0xc4
	s_addc_u32 s3, s35, 0
	s_mov_b32 s28, 0
	v_mov_b32_e32 v2, 0
	v_mov_b32_e32 v14, 0
	s_mov_b64 s[24:25], s[34:35]
	v_mov_b32_e32 v5, v4
.LBB7_36:                               ; =>This Inner Loop Header: Depth=1
	s_load_dwordx8 s[12:19], s[24:25], 0x4
	s_load_dwordx4 s[20:23], s[24:25], 0x24
	s_load_dwordx8 s[4:11], s[2:3], 0x0
	s_add_u32 s24, s24, 48
	s_addc_u32 s25, s25, 0
	s_waitcnt lgkmcnt(0)
	v_mul_hi_u32 v1, s13, v5
	v_add_u32_e32 v1, v5, v1
	v_lshrrev_b32_e32 v1, s14, v1
	v_mul_lo_u32 v3, v1, s12
	v_mul_hi_u32 v6, s16, v1
	v_sub_u32_e32 v3, v5, v3
	v_add_u32_e32 v5, v1, v6
	v_lshrrev_b32_e32 v5, s17, v5
	v_mul_lo_u32 v7, v5, s15
	v_mul_hi_u32 v8, s19, v5
	v_sub_u32_e32 v1, v1, v7
	v_add_u32_e32 v7, v5, v8
	v_mul_lo_u32 v6, v3, s5
	v_mul_lo_u32 v3, v3, s4
	;; [unrolled: 1-line block ×4, first 2 shown]
	v_lshrrev_b32_e32 v7, s20, v7
	v_add3_u32 v1, v3, v2, v1
	v_add3_u32 v2, v6, v14, v8
	v_mul_lo_u32 v3, v7, s18
	v_mul_hi_u32 v6, s22, v7
	v_sub_u32_e32 v3, v5, v3
	v_add_u32_e32 v5, v7, v6
	v_lshrrev_b32_e32 v5, s23, v5
	s_add_i32 s28, s28, 4
	v_mul_lo_u32 v8, v5, s21
	s_add_u32 s2, s2, 32
	v_sub_u32_e32 v7, v7, v8
	s_addc_u32 s3, s3, 0
	v_mul_lo_u32 v6, v3, s8
	v_mul_lo_u32 v3, v3, s9
	v_mul_lo_u32 v8, v7, s10
	v_mul_lo_u32 v7, v7, s11
	s_cmp_lg_u32 s26, s28
	v_add3_u32 v14, v3, v2, v7
	v_add3_u32 v2, v6, v1, v8
	s_cbranch_scc1 .LBB7_36
; %bb.37:
	v_mov_b32_e32 v1, v14
	s_and_b32 s6, s27, 3
	s_cmp_eq_u32 s6, 0
	s_cbranch_scc0 .LBB7_41
	s_branch .LBB7_43
.LBB7_38:
                                        ; implicit-def: $vgpr14
                                        ; implicit-def: $vgpr2
	s_branch .LBB7_44
.LBB7_39:
	v_mov_b32_e32 v14, 0
	v_mov_b32_e32 v2, 0
	s_branch .LBB7_43
.LBB7_40:
	v_mov_b32_e32 v2, 0
                                        ; implicit-def: $vgpr14
	v_mov_b32_e32 v1, v2
	v_mov_b32_e32 v5, v4
	s_and_b32 s6, s27, 3
	s_cmp_eq_u32 s6, 0
	s_cbranch_scc1 .LBB7_43
.LBB7_41:
	s_lshl_b32 s2, s26, 3
	s_add_u32 s2, s34, s2
	s_addc_u32 s3, s35, 0
	s_add_u32 s2, s2, 0xc4
	s_addc_u32 s3, s3, 0
	s_mul_i32 s4, s26, 12
	s_add_u32 s4, s34, s4
	s_addc_u32 s5, s35, 0
.LBB7_42:                               ; =>This Inner Loop Header: Depth=1
	s_load_dwordx2 s[8:9], s[4:5], 0x4
	s_load_dword s7, s[4:5], 0xc
	s_load_dwordx2 s[10:11], s[2:3], 0x0
	v_mov_b32_e32 v6, v1
	s_add_u32 s4, s4, 12
	s_waitcnt lgkmcnt(0)
	v_mul_hi_u32 v1, s9, v5
	v_add_u32_e32 v1, v5, v1
	v_lshrrev_b32_e32 v1, s7, v1
	s_addc_u32 s5, s5, 0
	v_mul_lo_u32 v3, v1, s8
	s_add_u32 s2, s2, 8
	v_sub_u32_e32 v3, v5, v3
	s_addc_u32 s3, s3, 0
	s_add_i32 s6, s6, -1
	v_mad_u64_u32 v[14:15], s[8:9], v3, s11, v[6:7]
	s_cmp_lg_u32 s6, 0
	v_mov_b32_e32 v5, v1
	v_mad_u64_u32 v[2:3], s[8:9], v3, s10, v[2:3]
	v_mov_b32_e32 v1, v14
	s_cbranch_scc1 .LBB7_42
.LBB7_43:
	s_cbranch_execnz .LBB7_46
.LBB7_44:
	s_load_dwordx4 s[4:7], s[34:35], 0x4
	s_load_dwordx2 s[2:3], s[34:35], 0xc4
	s_cmp_lt_u32 s33, 2
	s_waitcnt lgkmcnt(0)
	v_mul_hi_u32 v1, s5, v4
	v_add_u32_e32 v1, v4, v1
	v_lshrrev_b32_e32 v1, s6, v1
	v_mul_lo_u32 v2, v1, s4
	v_sub_u32_e32 v2, v4, v2
	v_mul_lo_u32 v14, v2, s3
	v_mul_lo_u32 v2, v2, s2
	s_cbranch_scc1 .LBB7_46
; %bb.45:
	s_load_dwordx4 s[4:7], s[34:35], 0x10
	s_load_dwordx2 s[2:3], s[34:35], 0xcc
	s_waitcnt lgkmcnt(0)
	v_mul_hi_u32 v3, s5, v1
	v_add_u32_e32 v3, v1, v3
	v_lshrrev_b32_e32 v3, s6, v3
	v_mul_lo_u32 v3, v3, s4
	v_sub_u32_e32 v1, v1, v3
	v_mad_u64_u32 v[2:3], s[4:5], v1, s2, v[2:3]
	v_mad_u64_u32 v[14:15], s[2:3], v1, s3, v[14:15]
.LBB7_46:
	s_and_b64 vcc, exec, s[0:1]
	v_add_u32_e32 v3, 0x100, v22
	s_cbranch_vccnz .LBB7_52
; %bb.47:
	s_cmp_lg_u32 s33, 0
	s_waitcnt lgkmcnt(0)
	s_mov_b32 s26, 0
	s_cbranch_scc0 .LBB7_53
; %bb.48:
	s_min_u32 s27, s54, 15
	s_add_i32 s27, s27, 1
	s_cmp_eq_u32 s54, 2
	s_cbranch_scc1 .LBB7_54
; %bb.49:
	s_and_b32 s26, s27, 28
	s_add_u32 s2, s34, 0xc4
	s_addc_u32 s3, s35, 0
	s_mov_b32 s28, 0
	v_mov_b32_e32 v4, 0
	v_mov_b32_e32 v12, 0
	s_mov_b64 s[24:25], s[34:35]
	v_mov_b32_e32 v6, v3
.LBB7_50:                               ; =>This Inner Loop Header: Depth=1
	s_load_dwordx8 s[12:19], s[24:25], 0x4
	s_load_dwordx4 s[20:23], s[24:25], 0x24
	s_load_dwordx8 s[4:11], s[2:3], 0x0
	s_add_u32 s24, s24, 48
	s_addc_u32 s25, s25, 0
	s_waitcnt lgkmcnt(0)
	v_mul_hi_u32 v1, s13, v6
	v_add_u32_e32 v1, v6, v1
	v_lshrrev_b32_e32 v1, s14, v1
	v_mul_lo_u32 v5, v1, s12
	v_mul_hi_u32 v7, s16, v1
	v_sub_u32_e32 v5, v6, v5
	v_add_u32_e32 v6, v1, v7
	v_lshrrev_b32_e32 v6, s17, v6
	v_mul_lo_u32 v8, v6, s15
	v_mul_hi_u32 v9, s19, v6
	v_sub_u32_e32 v1, v1, v8
	v_add_u32_e32 v8, v6, v9
	v_mul_lo_u32 v7, v5, s5
	v_mul_lo_u32 v5, v5, s4
	;; [unrolled: 1-line block ×4, first 2 shown]
	v_lshrrev_b32_e32 v8, s20, v8
	v_add3_u32 v1, v5, v4, v1
	v_add3_u32 v4, v7, v12, v9
	v_mul_lo_u32 v5, v8, s18
	v_mul_hi_u32 v7, s22, v8
	v_sub_u32_e32 v5, v6, v5
	v_add_u32_e32 v6, v8, v7
	v_lshrrev_b32_e32 v6, s23, v6
	s_add_i32 s28, s28, 4
	v_mul_lo_u32 v9, v6, s21
	s_add_u32 s2, s2, 32
	v_sub_u32_e32 v8, v8, v9
	s_addc_u32 s3, s3, 0
	v_mul_lo_u32 v7, v5, s8
	v_mul_lo_u32 v5, v5, s9
	;; [unrolled: 1-line block ×4, first 2 shown]
	s_cmp_lg_u32 s26, s28
	v_add3_u32 v12, v5, v4, v8
	v_add3_u32 v4, v7, v1, v9
	s_cbranch_scc1 .LBB7_50
; %bb.51:
	v_mov_b32_e32 v1, v12
	s_and_b32 s6, s27, 3
	s_cmp_eq_u32 s6, 0
	s_cbranch_scc0 .LBB7_55
	s_branch .LBB7_57
.LBB7_52:
                                        ; implicit-def: $vgpr12
                                        ; implicit-def: $vgpr4
	s_branch .LBB7_58
.LBB7_53:
	v_mov_b32_e32 v12, 0
	v_mov_b32_e32 v4, 0
	s_branch .LBB7_57
.LBB7_54:
	v_mov_b32_e32 v4, 0
                                        ; implicit-def: $vgpr12
	v_mov_b32_e32 v1, v4
	v_mov_b32_e32 v6, v3
	s_and_b32 s6, s27, 3
	s_cmp_eq_u32 s6, 0
	s_cbranch_scc1 .LBB7_57
.LBB7_55:
	s_lshl_b32 s2, s26, 3
	s_add_u32 s2, s34, s2
	s_addc_u32 s3, s35, 0
	s_add_u32 s2, s2, 0xc4
	s_addc_u32 s3, s3, 0
	s_mul_i32 s4, s26, 12
	s_add_u32 s4, s34, s4
	s_addc_u32 s5, s35, 0
.LBB7_56:                               ; =>This Inner Loop Header: Depth=1
	s_load_dwordx2 s[8:9], s[4:5], 0x4
	s_load_dword s7, s[4:5], 0xc
	s_load_dwordx2 s[10:11], s[2:3], 0x0
	v_mov_b32_e32 v8, v1
	s_add_u32 s4, s4, 12
	s_waitcnt lgkmcnt(0)
	v_mul_hi_u32 v1, s9, v6
	v_add_u32_e32 v1, v6, v1
	v_lshrrev_b32_e32 v1, s7, v1
	s_addc_u32 s5, s5, 0
	v_mul_lo_u32 v5, v1, s8
	s_add_u32 s2, s2, 8
	v_sub_u32_e32 v5, v6, v5
	s_addc_u32 s3, s3, 0
	s_add_i32 s6, s6, -1
	v_mad_u64_u32 v[12:13], s[8:9], v5, s11, v[8:9]
	s_cmp_lg_u32 s6, 0
	v_mov_b32_e32 v6, v1
	v_mad_u64_u32 v[4:5], s[8:9], v5, s10, v[4:5]
	v_mov_b32_e32 v1, v12
	s_cbranch_scc1 .LBB7_56
.LBB7_57:
	s_cbranch_execnz .LBB7_60
.LBB7_58:
	s_load_dwordx4 s[4:7], s[34:35], 0x4
	s_load_dwordx2 s[2:3], s[34:35], 0xc4
	s_cmp_lt_u32 s33, 2
	s_waitcnt lgkmcnt(0)
	v_mul_hi_u32 v1, s5, v3
	v_add_u32_e32 v1, v3, v1
	v_lshrrev_b32_e32 v1, s6, v1
	v_mul_lo_u32 v4, v1, s4
	v_sub_u32_e32 v3, v3, v4
	v_mul_lo_u32 v12, v3, s3
	v_mul_lo_u32 v4, v3, s2
	s_cbranch_scc1 .LBB7_60
; %bb.59:
	s_load_dwordx4 s[4:7], s[34:35], 0x10
	s_load_dwordx2 s[2:3], s[34:35], 0xcc
	s_waitcnt lgkmcnt(0)
	v_mul_hi_u32 v3, s5, v1
	v_add_u32_e32 v3, v1, v3
	v_lshrrev_b32_e32 v3, s6, v3
	v_mul_lo_u32 v3, v3, s4
	v_sub_u32_e32 v1, v1, v3
	v_mad_u64_u32 v[4:5], s[4:5], v1, s2, v[4:5]
	v_mad_u64_u32 v[12:13], s[2:3], v1, s3, v[12:13]
.LBB7_60:
	s_and_b64 vcc, exec, s[0:1]
	s_cbranch_vccnz .LBB7_66
; %bb.61:
	s_cmp_lg_u32 s33, 0
	s_waitcnt lgkmcnt(0)
	s_mov_b32 s24, 0
	s_cbranch_scc0 .LBB7_67
; %bb.62:
	s_min_u32 s25, s54, 15
	s_add_i32 s25, s25, 1
	s_cmp_eq_u32 s54, 2
	s_cbranch_scc1 .LBB7_68
; %bb.63:
	s_and_b32 s24, s25, 28
	s_add_u32 s20, s34, 0xc4
	s_addc_u32 s21, s35, 0
	s_mov_b32 s26, 0
	v_mov_b32_e32 v6, 0
	v_mov_b32_e32 v8, 0
	s_mov_b64 s[22:23], s[34:35]
	v_mov_b32_e32 v3, v16
.LBB7_64:                               ; =>This Inner Loop Header: Depth=1
	s_load_dwordx8 s[8:15], s[22:23], 0x4
	s_load_dwordx4 s[16:19], s[22:23], 0x24
	s_load_dwordx8 s[0:7], s[20:21], 0x0
	s_add_u32 s22, s22, 48
	s_addc_u32 s23, s23, 0
	s_waitcnt lgkmcnt(0)
	v_mul_hi_u32 v1, s9, v3
	v_add_u32_e32 v1, v3, v1
	v_lshrrev_b32_e32 v1, s10, v1
	v_mul_lo_u32 v5, v1, s8
	v_mul_hi_u32 v7, s12, v1
	v_sub_u32_e32 v3, v3, v5
	v_add_u32_e32 v5, v1, v7
	v_lshrrev_b32_e32 v5, s13, v5
	v_mul_lo_u32 v9, v5, s11
	v_mul_hi_u32 v11, s15, v5
	v_sub_u32_e32 v1, v1, v9
	v_add_u32_e32 v9, v5, v11
	v_mul_lo_u32 v7, v3, s1
	v_mul_lo_u32 v3, v3, s0
	;; [unrolled: 1-line block ×4, first 2 shown]
	v_lshrrev_b32_e32 v9, s16, v9
	v_add3_u32 v1, v3, v6, v1
	v_add3_u32 v6, v7, v8, v11
	v_mul_lo_u32 v3, v9, s14
	v_mul_hi_u32 v7, s18, v9
	v_sub_u32_e32 v3, v5, v3
	v_add_u32_e32 v5, v9, v7
	v_mul_lo_u32 v7, v3, s4
	v_mul_lo_u32 v8, v3, s5
	v_lshrrev_b32_e32 v3, s19, v5
	s_add_i32 s26, s26, 4
	v_mul_lo_u32 v5, v3, s17
	s_add_u32 s20, s20, 32
	v_sub_u32_e32 v5, v9, v5
	s_addc_u32 s21, s21, 0
	v_mul_lo_u32 v9, v5, s6
	v_mul_lo_u32 v5, v5, s7
	s_cmp_lg_u32 s24, s26
	v_add3_u32 v8, v8, v6, v5
	v_add3_u32 v6, v7, v1, v9
	s_cbranch_scc1 .LBB7_64
; %bb.65:
	v_mov_b32_e32 v1, v8
	s_and_b32 s4, s25, 3
	s_cmp_eq_u32 s4, 0
	s_cbranch_scc0 .LBB7_69
	s_branch .LBB7_71
.LBB7_66:
                                        ; implicit-def: $vgpr8
                                        ; implicit-def: $vgpr6
	s_branch .LBB7_72
.LBB7_67:
	v_mov_b32_e32 v8, 0
	v_mov_b32_e32 v6, 0
	s_branch .LBB7_71
.LBB7_68:
	v_mov_b32_e32 v6, 0
                                        ; implicit-def: $vgpr8
	v_mov_b32_e32 v1, v6
	v_mov_b32_e32 v3, v16
	s_and_b32 s4, s25, 3
	s_cmp_eq_u32 s4, 0
	s_cbranch_scc1 .LBB7_71
.LBB7_69:
	s_lshl_b32 s0, s24, 3
	s_add_u32 s0, s34, s0
	s_addc_u32 s1, s35, 0
	s_add_u32 s0, s0, 0xc4
	s_addc_u32 s1, s1, 0
	s_mul_i32 s2, s24, 12
	s_add_u32 s2, s34, s2
	s_addc_u32 s3, s35, 0
.LBB7_70:                               ; =>This Inner Loop Header: Depth=1
	s_load_dwordx2 s[6:7], s[2:3], 0x4
	s_load_dword s5, s[2:3], 0xc
	s_load_dwordx2 s[8:9], s[0:1], 0x0
	v_mov_b32_e32 v8, v1
	s_add_u32 s2, s2, 12
	s_waitcnt lgkmcnt(0)
	v_mul_hi_u32 v1, s7, v3
	v_add_u32_e32 v1, v3, v1
	v_lshrrev_b32_e32 v1, s5, v1
	s_addc_u32 s3, s3, 0
	v_mul_lo_u32 v5, v1, s6
	s_add_u32 s0, s0, 8
	v_sub_u32_e32 v5, v3, v5
	s_addc_u32 s1, s1, 0
	s_add_i32 s4, s4, -1
	v_mad_u64_u32 v[8:9], s[6:7], v5, s9, v[8:9]
	s_cmp_lg_u32 s4, 0
	v_mov_b32_e32 v3, v1
	v_mad_u64_u32 v[6:7], s[6:7], v5, s8, v[6:7]
	v_mov_b32_e32 v1, v8
	s_cbranch_scc1 .LBB7_70
.LBB7_71:
	s_cbranch_execnz .LBB7_74
.LBB7_72:
	s_load_dwordx4 s[0:3], s[34:35], 0x4
	s_load_dwordx2 s[4:5], s[34:35], 0xc4
	s_cmp_lt_u32 s33, 2
	s_waitcnt lgkmcnt(0)
	v_mul_hi_u32 v1, s1, v16
	v_add_u32_e32 v1, v16, v1
	v_lshrrev_b32_e32 v1, s2, v1
	v_mul_lo_u32 v3, v1, s0
	v_sub_u32_e32 v3, v16, v3
	v_mul_lo_u32 v8, v3, s5
	v_mul_lo_u32 v6, v3, s4
	s_cbranch_scc1 .LBB7_74
; %bb.73:
	s_load_dwordx4 s[0:3], s[34:35], 0x10
	s_load_dwordx2 s[4:5], s[34:35], 0xcc
	s_waitcnt lgkmcnt(0)
	v_mul_hi_u32 v3, s1, v1
	v_add_u32_e32 v3, v1, v3
	v_lshrrev_b32_e32 v3, s2, v3
	v_mul_lo_u32 v3, v3, s0
	v_sub_u32_e32 v1, v1, v3
	v_mad_u64_u32 v[6:7], s[0:1], v1, s4, v[6:7]
	v_mad_u64_u32 v[8:9], s[0:1], v1, s5, v[8:9]
.LBB7_74:
	s_load_dwordx4 s[4:7], s[34:35], 0x148
	s_mov_b32 s0, 0
	s_mov_b32 s1, 0x40140000
	s_waitcnt lgkmcnt(0)
	global_load_dwordx2 v[16:17], v10, s[6:7]
                                        ; implicit-def: $vgpr10_vgpr11
	s_waitcnt vmcnt(0)
	v_cmp_ge_f64_e32 vcc, s[0:1], v[16:17]
	s_and_saveexec_b64 s[0:1], vcc
	s_xor_b64 s[0:1], exec, s[0:1]
	s_cbranch_execz .LBB7_80
; %bb.75:
	v_mov_b32_e32 v10, 0
	v_cmp_neq_f64_e32 vcc, 0, v[16:17]
	v_mov_b32_e32 v11, 0xfff00000
	s_and_saveexec_b64 s[2:3], vcc
	s_cbranch_execz .LBB7_79
; %bb.76:
	v_mov_b32_e32 v10, 0
	v_cmp_nge_f64_e32 vcc, 0, v[16:17]
	v_mov_b32_e32 v11, 0x7ff80000
	s_and_saveexec_b64 s[8:9], vcc
	s_cbranch_execz .LBB7_78
; %bb.77:
	v_mul_f64 v[10:11], v[16:17], v[16:17]
	v_mov_b32_e32 v18, 0x62f9b6c5
	v_mov_b32_e32 v19, 0x41d2d2be
	v_fmac_f64_e32 v[18:19], 0, v[10:11]
	v_mov_b32_e32 v20, 0x58836521
	v_mov_b32_e32 v21, 0xc262d72d
	v_fmac_f64_e32 v[20:21], v[10:11], v[18:19]
	;; [unrolled: 3-line block ×14, first 2 shown]
	v_div_scale_f64 v[18:19], s[10:11], v[22:23], v[22:23], v[20:21]
	v_rcp_f64_e32 v[24:25], v[18:19]
	v_mov_b32_e32 v30, 0xd438c6b
	v_mov_b32_e32 v31, 0x425a52ba
	;; [unrolled: 1-line block ×3, first 2 shown]
	v_fma_f64 v[26:27], -v[18:19], v[24:25], 1.0
	v_fmac_f64_e32 v[24:25], v[24:25], v[26:27]
	v_fma_f64 v[26:27], -v[18:19], v[24:25], 1.0
	v_fmac_f64_e32 v[24:25], v[24:25], v[26:27]
	v_div_scale_f64 v[26:27], vcc, v[20:21], v[22:23], v[20:21]
	v_mul_f64 v[28:29], v[26:27], v[24:25]
	v_fma_f64 v[18:19], -v[18:19], v[28:29], v[26:27]
	v_mov_b32_e32 v26, 0x4cda4fc5
	v_mov_b32_e32 v27, 0xc1cad23c
	v_fmac_f64_e32 v[26:27], 0, v[10:11]
	v_fmac_f64_e32 v[30:31], v[10:11], v[26:27]
	v_mov_b32_e32 v26, 0xe6ccf175
	v_mov_b32_e32 v27, 0xc2d08a92
	v_fmac_f64_e32 v[26:27], v[10:11], v[30:31]
	v_mov_b32_e32 v30, 0x1b7086e7
	v_mov_b32_e32 v31, 0x408366b1
	v_fmac_f64_e32 v[30:31], 0, v[10:11]
	v_mov_b32_e32 v33, 0x410f5eda
	v_fmac_f64_e32 v[32:33], v[10:11], v[30:31]
	v_mov_b32_e32 v30, 0xdc92a1b1
	v_mov_b32_e32 v31, 0x4193e954
	v_fmac_f64_e32 v[30:31], v[10:11], v[32:33]
	v_mov_b32_e32 v32, 0x7befeac1
	;; [unrolled: 3-line block ×7, first 2 shown]
	v_mov_b32_e32 v31, 0x432a2b42
	v_fmac_f64_e32 v[30:31], v[10:11], v[26:27]
	v_div_scale_f64 v[10:11], s[10:11], v[32:33], v[32:33], v[30:31]
	v_rcp_f64_e32 v[26:27], v[10:11]
	v_div_fmas_f64 v[18:19], v[18:19], v[24:25], v[28:29]
	v_div_fixup_f64 v[18:19], v[18:19], v[22:23], v[20:21]
	s_mov_b32 s10, 0x55555555
	v_fma_f64 v[20:21], -v[10:11], v[26:27], 1.0
	v_fmac_f64_e32 v[26:27], v[26:27], v[20:21]
	v_fma_f64 v[20:21], -v[10:11], v[26:27], 1.0
	v_fmac_f64_e32 v[26:27], v[26:27], v[20:21]
	v_div_scale_f64 v[20:21], vcc, v[30:31], v[32:33], v[30:31]
	v_mul_f64 v[22:23], v[20:21], v[26:27]
	v_fma_f64 v[10:11], -v[10:11], v[22:23], v[20:21]
	v_mov_b32_e32 v20, 0x4189822c
	s_nop 0
	v_div_fmas_f64 v[10:11], v[10:11], v[26:27], v[22:23]
	v_div_fixup_f64 v[10:11], v[10:11], v[32:33], v[30:31]
	v_mov_b32_e32 v21, 0xc02d5d2b
	v_mul_f64 v[10:11], v[16:17], v[10:11]
	v_fmac_f64_e32 v[20:21], v[16:17], v[16:17]
	v_mul_f64 v[10:11], v[20:21], v[10:11]
	v_mov_b32_e32 v20, 0x6072a432
	v_mov_b32_e32 v21, 0xc0489bf6
	v_fmac_f64_e32 v[20:21], v[16:17], v[16:17]
	v_mul_f64 v[10:11], v[20:21], v[10:11]
	v_frexp_mant_f64_e32 v[20:21], v[16:17]
	s_mov_b32 s11, 0x3fe55555
	v_cmp_gt_f64_e32 vcc, s[10:11], v[20:21]
	s_mov_b32 s10, 0xbf559e2b
	s_mov_b32 s11, 0x3fc3ab76
	v_cndmask_b32_e64 v3, 0, 1, vcc
	v_ldexp_f64 v[20:21], v[20:21], v3
	v_add_f64 v[22:23], v[20:21], 1.0
	v_rcp_f64_e32 v[24:25], v[22:23]
	v_add_f64 v[28:29], v[22:23], -1.0
	v_add_f64 v[26:27], v[20:21], -1.0
	v_add_f64 v[20:21], v[20:21], -v[28:29]
	v_fma_f64 v[28:29], -v[22:23], v[24:25], 1.0
	v_fmac_f64_e32 v[24:25], v[28:29], v[24:25]
	v_fma_f64 v[28:29], -v[22:23], v[24:25], 1.0
	v_fmac_f64_e32 v[24:25], v[28:29], v[24:25]
	v_mul_f64 v[28:29], v[26:27], v[24:25]
	v_mul_f64 v[30:31], v[22:23], v[28:29]
	v_fma_f64 v[22:23], v[28:29], v[22:23], -v[30:31]
	v_fmac_f64_e32 v[22:23], v[28:29], v[20:21]
	v_add_f64 v[20:21], v[30:31], v[22:23]
	v_add_f64 v[32:33], v[26:27], -v[20:21]
	v_add_f64 v[30:31], v[20:21], -v[30:31]
	;; [unrolled: 1-line block ×5, first 2 shown]
	v_add_f64 v[20:21], v[22:23], v[20:21]
	v_add_f64 v[20:21], v[32:33], v[20:21]
	v_mul_f64 v[20:21], v[24:25], v[20:21]
	v_add_f64 v[22:23], v[28:29], v[20:21]
	v_add_f64 v[24:25], v[22:23], -v[28:29]
	v_add_f64 v[20:21], v[20:21], -v[24:25]
	v_mul_f64 v[24:25], v[22:23], v[22:23]
	v_mov_b32_e32 v26, 0x6b47b09a
	v_mov_b32_e32 v27, 0x3fc38538
	v_fmac_f64_e32 v[26:27], s[10:11], v[24:25]
	v_mov_b32_e32 v28, 0xd7f4df2e
	v_mov_b32_e32 v29, 0x3fc7474d
	v_fmac_f64_e32 v[28:29], v[24:25], v[26:27]
	;; [unrolled: 3-line block ×6, first 2 shown]
	v_ldexp_f64 v[26:27], v[22:23], 1
	v_mul_f64 v[22:23], v[22:23], v[24:25]
	v_mul_f64 v[22:23], v[22:23], v[28:29]
	v_add_f64 v[24:25], v[26:27], v[22:23]
	v_add_f64 v[26:27], v[24:25], -v[26:27]
	v_ldexp_f64 v[20:21], v[20:21], 1
	v_add_f64 v[22:23], v[22:23], -v[26:27]
	v_add_f64 v[20:21], v[20:21], v[22:23]
	v_frexp_exp_i32_f64_e32 v1, v[16:17]
	v_add_f64 v[22:23], v[24:25], v[20:21]
	v_subbrev_co_u32_e32 v1, vcc, 0, v1, vcc
	v_add_f64 v[24:25], v[22:23], -v[24:25]
	s_mov_b32 s10, 0xfefa39ef
	v_add_f64 v[20:21], v[20:21], -v[24:25]
	v_cvt_f64_i32_e32 v[24:25], v1
	s_mov_b32 s11, 0x3fe62e42
	v_mul_f64 v[26:27], v[24:25], s[10:11]
	v_fma_f64 v[28:29], v[24:25], s[10:11], -v[26:27]
	s_mov_b32 s10, 0x3b39803f
	s_mov_b32 s11, 0x3c7abc9e
	v_fmac_f64_e32 v[28:29], s[10:11], v[24:25]
	v_add_f64 v[24:25], v[26:27], v[28:29]
	v_add_f64 v[26:27], v[24:25], -v[26:27]
	v_add_f64 v[26:27], v[28:29], -v[26:27]
	v_add_f64 v[28:29], v[24:25], v[22:23]
	v_add_f64 v[30:31], v[28:29], -v[24:25]
	v_add_f64 v[32:33], v[28:29], -v[30:31]
	;; [unrolled: 1-line block ×4, first 2 shown]
	v_add_f64 v[22:23], v[22:23], v[24:25]
	v_add_f64 v[24:25], v[26:27], v[20:21]
	v_add_f64 v[30:31], v[24:25], -v[26:27]
	v_add_f64 v[32:33], v[24:25], -v[30:31]
	v_add_f64 v[22:23], v[24:25], v[22:23]
	v_add_f64 v[26:27], v[26:27], -v[32:33]
	v_add_f64 v[20:21], v[20:21], -v[30:31]
	v_add_f64 v[24:25], v[28:29], v[22:23]
	v_add_f64 v[20:21], v[20:21], v[26:27]
	v_add_f64 v[26:27], v[24:25], -v[28:29]
	v_div_scale_f64 v[28:29], s[10:11], v[16:17], v[16:17], -1.0
	v_rcp_f64_e32 v[30:31], v[28:29]
	v_add_f64 v[22:23], v[22:23], -v[26:27]
	v_add_f64 v[20:21], v[20:21], v[22:23]
	v_add_f64 v[20:21], v[24:25], v[20:21]
	v_fma_f64 v[22:23], -v[28:29], v[30:31], 1.0
	v_fmac_f64_e32 v[30:31], v[30:31], v[22:23]
	v_fma_f64 v[22:23], -v[28:29], v[30:31], 1.0
	v_fmac_f64_e32 v[30:31], v[30:31], v[22:23]
	v_div_scale_f64 v[22:23], vcc, -1.0, v[16:17], -1.0
	v_mul_f64 v[24:25], v[22:23], v[30:31]
	v_fma_f64 v[22:23], -v[28:29], v[24:25], v[22:23]
	s_mov_b32 s10, 0x6dc9c883
	s_nop 0
	v_div_fmas_f64 v[22:23], v[22:23], v[30:31], v[24:25]
	v_div_fixup_f64 v[22:23], v[22:23], v[16:17], -1.0
	v_fmac_f64_e32 v[22:23], v[10:11], v[20:21]
	s_mov_b32 s11, 0x3fe45f30
	v_mul_f64 v[10:11], v[22:23], s[10:11]
	v_fmac_f64_e32 v[10:11], v[16:17], v[18:19]
.LBB7_78:
	s_or_b64 exec, exec, s[8:9]
.LBB7_79:
	s_or_b64 exec, exec, s[2:3]
                                        ; implicit-def: $vgpr16_vgpr17
.LBB7_80:
	s_andn2_saveexec_b64 s[2:3], s[0:1]
	s_cbranch_execz .LBB7_90
; %bb.81:
	s_mov_b32 s0, 0x7f3321d2
	s_mov_b32 s1, 0xc002d97c
	v_add_f64 v[10:11], v[16:17], s[0:1]
	s_mov_b32 s0, 0
	s_mov_b32 s1, 0x41d00000
	v_cmp_nlt_f64_e64 s[8:9], |v[10:11]|, s[0:1]
	v_trig_preop_f64 v[30:31], |v[10:11]|, 0
	v_trig_preop_f64 v[28:29], |v[10:11]|, 1
	;; [unrolled: 1-line block ×3, first 2 shown]
                                        ; implicit-def: $vgpr1
                                        ; implicit-def: $vgpr18_vgpr19
                                        ; implicit-def: $vgpr20_vgpr21
	s_and_saveexec_b64 s[0:1], s[8:9]
	s_xor_b64 s[10:11], exec, s[0:1]
	s_cbranch_execz .LBB7_83
; %bb.82:
	s_mov_b32 s0, 0
	s_mov_b32 s1, 0x7b000000
	s_movk_i32 s12, 0xff80
	v_and_b32_e32 v1, 0x7fffffff, v11
	v_ldexp_f64 v[18:19], |v[10:11]|, s12
	v_cmp_ge_f64_e64 vcc, |v[10:11]|, s[0:1]
	s_mov_b32 s0, 0
	s_mov_b32 s1, 0x7ff00000
	v_cndmask_b32_e32 v19, v1, v19, vcc
	v_cndmask_b32_e32 v18, v10, v18, vcc
	v_mul_f64 v[22:23], v[30:31], v[18:19]
	v_mul_f64 v[20:21], v[28:29], v[18:19]
	v_fma_f64 v[24:25], v[30:31], v[18:19], -v[22:23]
	v_add_f64 v[32:33], v[20:21], v[24:25]
	v_add_f64 v[40:41], v[32:33], -v[20:21]
	v_add_f64 v[24:25], v[24:25], -v[40:41]
	;; [unrolled: 1-line block ×4, first 2 shown]
	v_add_f64 v[24:25], v[24:25], v[40:41]
	v_fma_f64 v[20:21], v[28:29], v[18:19], -v[20:21]
	v_mul_f64 v[40:41], v[26:27], v[18:19]
	v_add_f64 v[42:43], v[40:41], v[20:21]
	v_add_f64 v[34:35], v[22:23], v[32:33]
	;; [unrolled: 1-line block ×3, first 2 shown]
	v_ldexp_f64 v[36:37], v[34:35], -2
	v_add_f64 v[22:23], v[34:35], -v[22:23]
	v_add_f64 v[34:35], v[44:45], -v[42:43]
	;; [unrolled: 1-line block ×5, first 2 shown]
	v_add_f64 v[24:25], v[24:25], v[34:35]
	v_add_f64 v[34:35], v[42:43], -v[40:41]
	v_add_f64 v[20:21], v[20:21], -v[34:35]
	;; [unrolled: 1-line block ×5, first 2 shown]
	v_add_f64 v[20:21], v[20:21], v[34:35]
	v_fract_f64_e32 v[38:39], v[36:37]
	v_add_f64 v[32:33], v[22:23], v[44:45]
	v_add_f64 v[20:21], v[20:21], v[24:25]
	v_fma_f64 v[18:19], v[26:27], v[18:19], -v[40:41]
	v_add_f64 v[22:23], v[32:33], -v[22:23]
	v_add_f64 v[18:19], v[18:19], v[20:21]
	v_ldexp_f64 v[20:21], v[38:39], 2
	v_cmp_neq_f64_e64 vcc, |v[36:37]|, s[0:1]
	v_add_f64 v[22:23], v[44:45], -v[22:23]
	v_add_f64 v[18:19], v[22:23], v[18:19]
	v_cndmask_b32_e32 v21, 0, v21, vcc
	v_cndmask_b32_e32 v20, 0, v20, vcc
	v_add_f64 v[22:23], v[32:33], v[20:21]
	v_mov_b32_e32 v1, 0x40100000
	v_cmp_gt_f64_e32 vcc, 0, v[22:23]
	v_mov_b32_e32 v22, 0
	v_mov_b32_e32 v3, 0x3ff00000
	v_cndmask_b32_e32 v23, 0, v1, vcc
	v_add_f64 v[20:21], v[20:21], v[22:23]
	v_add_f64 v[24:25], v[32:33], v[20:21]
	v_cvt_i32_f64_e32 v1, v[24:25]
	v_cvt_f64_i32_e32 v[24:25], v1
	v_add_f64 v[20:21], v[20:21], -v[24:25]
	v_add_f64 v[24:25], v[32:33], v[20:21]
	v_add_f64 v[20:21], v[24:25], -v[20:21]
	v_cmp_le_f64_e32 vcc, 0.5, v[24:25]
	v_add_f64 v[20:21], v[32:33], -v[20:21]
	v_add_f64 v[18:19], v[18:19], v[20:21]
	v_cndmask_b32_e32 v23, 0, v3, vcc
	v_addc_co_u32_e64 v1, s[0:1], 0, v1, vcc
	v_add_f64 v[20:21], v[24:25], -v[22:23]
	v_add_f64 v[22:23], v[20:21], v[18:19]
	s_mov_b32 s0, 0x54442d18
	v_add_f64 v[20:21], v[22:23], -v[20:21]
	s_mov_b32 s1, 0x3ff921fb
	v_add_f64 v[18:19], v[18:19], -v[20:21]
	v_mul_f64 v[20:21], v[22:23], s[0:1]
	s_mov_b32 s12, 0x33145c07
	v_fma_f64 v[24:25], v[22:23], s[0:1], -v[20:21]
	s_mov_b32 s13, 0x3c91a626
	v_fmac_f64_e32 v[24:25], s[12:13], v[22:23]
	v_fmac_f64_e32 v[24:25], s[0:1], v[18:19]
	v_add_f64 v[18:19], v[20:21], v[24:25]
	v_add_f64 v[20:21], v[18:19], -v[20:21]
	v_add_f64 v[20:21], v[24:25], -v[20:21]
	s_andn2_saveexec_b64 s[0:1], s[10:11]
	s_cbranch_execz .LBB7_85
	s_branch .LBB7_84
.LBB7_83:
	s_andn2_saveexec_b64 s[0:1], s[10:11]
	s_cbranch_execz .LBB7_85
.LBB7_84:
	s_mov_b32 s10, 0x6dc9c883
	s_mov_b32 s11, 0x3fe45f30
	v_mul_f64 v[18:19], |v[10:11]|, s[10:11]
	s_mov_b32 s10, 0x54442d18
	v_rndne_f64_e32 v[22:23], v[18:19]
	s_mov_b32 s11, 0xbff921fb
	v_fma_f64 v[18:19], v[22:23], s[10:11], |v[10:11]|
	s_mov_b32 s11, 0xbc91a626
	s_mov_b32 s10, 0x33145c00
	v_mul_f64 v[24:25], v[22:23], s[10:11]
	v_add_f64 v[34:35], v[18:19], v[24:25]
	v_fma_f64 v[20:21], s[10:11], v[22:23], v[18:19]
	s_mov_b32 s11, 0x3c91a626
	v_add_f64 v[18:19], v[18:19], -v[34:35]
	v_fma_f64 v[32:33], s[10:11], v[22:23], v[24:25]
	v_add_f64 v[18:19], v[18:19], v[24:25]
	v_add_f64 v[24:25], v[34:35], -v[20:21]
	v_add_f64 v[18:19], v[24:25], v[18:19]
	s_mov_b32 s10, 0x252049c0
	v_add_f64 v[24:25], v[18:19], -v[32:33]
	s_mov_b32 s11, 0xb97b839a
	v_fmac_f64_e32 v[24:25], s[10:11], v[22:23]
	v_add_f64 v[18:19], v[20:21], v[24:25]
	v_add_f64 v[20:21], v[18:19], -v[20:21]
	v_add_f64 v[20:21], v[24:25], -v[20:21]
	v_cvt_i32_f64_e32 v1, v[22:23]
.LBB7_85:
	s_or_b64 exec, exec, s[0:1]
                                        ; implicit-def: $vgpr3
                                        ; implicit-def: $vgpr22_vgpr23
                                        ; implicit-def: $vgpr24_vgpr25
	s_and_saveexec_b64 s[0:1], s[8:9]
	s_xor_b64 s[8:9], exec, s[0:1]
	s_cbranch_execz .LBB7_87
; %bb.86:
	s_mov_b32 s0, 0
	s_mov_b32 s1, 0x7b000000
	s_movk_i32 s10, 0xff80
	v_and_b32_e32 v3, 0x7fffffff, v11
	v_ldexp_f64 v[22:23], |v[10:11]|, s10
	v_cmp_ge_f64_e64 vcc, |v[10:11]|, s[0:1]
	s_mov_b32 s0, 0
	s_mov_b32 s1, 0x7ff00000
	v_cndmask_b32_e32 v23, v3, v23, vcc
	v_cndmask_b32_e32 v22, v10, v22, vcc
	v_mul_f64 v[32:33], v[30:31], v[22:23]
	v_mul_f64 v[24:25], v[28:29], v[22:23]
	v_fma_f64 v[30:31], v[30:31], v[22:23], -v[32:33]
	v_add_f64 v[34:35], v[24:25], v[30:31]
	v_add_f64 v[42:43], v[34:35], -v[24:25]
	v_add_f64 v[30:31], v[30:31], -v[42:43]
	;; [unrolled: 1-line block ×4, first 2 shown]
	v_fma_f64 v[24:25], v[28:29], v[22:23], -v[24:25]
	v_mul_f64 v[28:29], v[26:27], v[22:23]
	v_add_f64 v[30:31], v[30:31], v[42:43]
	v_add_f64 v[42:43], v[28:29], v[24:25]
	;; [unrolled: 1-line block ×4, first 2 shown]
	v_ldexp_f64 v[38:39], v[36:37], -2
	v_add_f64 v[32:33], v[36:37], -v[32:33]
	v_add_f64 v[36:37], v[44:45], -v[42:43]
	;; [unrolled: 1-line block ×5, first 2 shown]
	v_add_f64 v[30:31], v[30:31], v[36:37]
	v_add_f64 v[36:37], v[42:43], -v[28:29]
	v_add_f64 v[24:25], v[24:25], -v[36:37]
	v_add_f64 v[36:37], v[42:43], -v[36:37]
	v_add_f64 v[36:37], v[28:29], -v[36:37]
	v_add_f64 v[24:25], v[24:25], v[36:37]
	v_fract_f64_e32 v[40:41], v[38:39]
	v_add_f64 v[24:25], v[24:25], v[30:31]
	v_fma_f64 v[22:23], v[26:27], v[22:23], -v[28:29]
	v_add_f64 v[32:33], v[34:35], -v[32:33]
	v_add_f64 v[22:23], v[22:23], v[24:25]
	v_ldexp_f64 v[24:25], v[40:41], 2
	v_cmp_neq_f64_e64 vcc, |v[38:39]|, s[0:1]
	v_add_f64 v[34:35], v[32:33], v[44:45]
	v_mov_b32_e32 v3, 0x40100000
	v_cndmask_b32_e32 v25, 0, v25, vcc
	v_cndmask_b32_e32 v24, 0, v24, vcc
	v_add_f64 v[26:27], v[34:35], v[24:25]
	v_cmp_gt_f64_e32 vcc, 0, v[26:27]
	v_mov_b32_e32 v26, 0
	v_add_f64 v[32:33], v[34:35], -v[32:33]
	v_cndmask_b32_e32 v27, 0, v3, vcc
	v_add_f64 v[24:25], v[24:25], v[26:27]
	v_add_f64 v[28:29], v[34:35], v[24:25]
	v_cvt_i32_f64_e32 v3, v[28:29]
	v_cvt_f64_i32_e32 v[28:29], v3
	v_add_f64 v[24:25], v[24:25], -v[28:29]
	v_add_f64 v[28:29], v[34:35], v[24:25]
	v_add_f64 v[32:33], v[44:45], -v[32:33]
	v_add_f64 v[24:25], v[28:29], -v[24:25]
	v_cmp_le_f64_e32 vcc, 0.5, v[28:29]
	v_mov_b32_e32 v5, 0x3ff00000
	v_add_f64 v[22:23], v[32:33], v[22:23]
	v_add_f64 v[24:25], v[34:35], -v[24:25]
	v_cndmask_b32_e32 v27, 0, v5, vcc
	v_add_f64 v[22:23], v[22:23], v[24:25]
	v_addc_co_u32_e64 v3, s[0:1], 0, v3, vcc
	v_add_f64 v[24:25], v[28:29], -v[26:27]
	v_add_f64 v[26:27], v[24:25], v[22:23]
	s_mov_b32 s0, 0x54442d18
	v_add_f64 v[24:25], v[26:27], -v[24:25]
	s_mov_b32 s1, 0x3ff921fb
	v_add_f64 v[22:23], v[22:23], -v[24:25]
	v_mul_f64 v[24:25], v[26:27], s[0:1]
	s_mov_b32 s10, 0x33145c07
	v_fma_f64 v[28:29], v[26:27], s[0:1], -v[24:25]
	s_mov_b32 s11, 0x3c91a626
	v_fmac_f64_e32 v[28:29], s[10:11], v[26:27]
	v_fmac_f64_e32 v[28:29], s[0:1], v[22:23]
	v_add_f64 v[22:23], v[24:25], v[28:29]
	v_add_f64 v[24:25], v[22:23], -v[24:25]
	v_add_f64 v[24:25], v[28:29], -v[24:25]
	s_andn2_saveexec_b64 s[0:1], s[8:9]
	s_cbranch_execnz .LBB7_88
	s_branch .LBB7_89
.LBB7_87:
	s_andn2_saveexec_b64 s[0:1], s[8:9]
	s_cbranch_execz .LBB7_89
.LBB7_88:
	s_mov_b32 s8, 0x6dc9c883
	s_mov_b32 s9, 0x3fe45f30
	v_mul_f64 v[22:23], |v[10:11]|, s[8:9]
	s_mov_b32 s8, 0x54442d18
	v_rndne_f64_e32 v[26:27], v[22:23]
	s_mov_b32 s9, 0xbff921fb
	v_fma_f64 v[22:23], v[26:27], s[8:9], |v[10:11]|
	s_mov_b32 s9, 0xbc91a626
	s_mov_b32 s8, 0x33145c00
	v_mul_f64 v[28:29], v[26:27], s[8:9]
	v_add_f64 v[32:33], v[22:23], v[28:29]
	v_fma_f64 v[24:25], s[8:9], v[26:27], v[22:23]
	s_mov_b32 s9, 0x3c91a626
	v_add_f64 v[22:23], v[22:23], -v[32:33]
	v_fma_f64 v[30:31], s[8:9], v[26:27], v[28:29]
	v_add_f64 v[22:23], v[22:23], v[28:29]
	v_add_f64 v[28:29], v[32:33], -v[24:25]
	v_add_f64 v[22:23], v[28:29], v[22:23]
	s_mov_b32 s8, 0x252049c0
	v_add_f64 v[28:29], v[22:23], -v[30:31]
	s_mov_b32 s9, 0xb97b839a
	v_fmac_f64_e32 v[28:29], s[8:9], v[26:27]
	v_add_f64 v[22:23], v[24:25], v[28:29]
	v_add_f64 v[24:25], v[22:23], -v[24:25]
	v_add_f64 v[24:25], v[28:29], -v[24:25]
	v_cvt_i32_f64_e32 v3, v[26:27]
.LBB7_89:
	s_or_b64 exec, exec, s[0:1]
	s_mov_b32 s0, 0
	s_mov_b32 s1, 0x40140000
	v_div_scale_f64 v[26:27], s[8:9], v[16:17], v[16:17], s[0:1]
	v_rcp_f64_e32 v[28:29], v[26:27]
	v_mov_b32_e32 v34, 0x5948aa83
	v_mov_b32_e32 v35, 0x3fb19fdd
	;; [unrolled: 1-line block ×3, first 2 shown]
	v_fma_f64 v[30:31], -v[26:27], v[28:29], 1.0
	v_fmac_f64_e32 v[28:29], v[28:29], v[30:31]
	v_fma_f64 v[30:31], -v[26:27], v[28:29], 1.0
	v_fmac_f64_e32 v[28:29], v[28:29], v[30:31]
	v_div_scale_f64 v[30:31], vcc, s[0:1], v[16:17], s[0:1]
	v_mul_f64 v[32:33], v[30:31], v[28:29]
	v_fma_f64 v[26:27], -v[26:27], v[32:33], v[30:31]
	v_mov_b32_e32 v37, 0x4013edb5
	s_nop 0
	v_div_fmas_f64 v[26:27], v[26:27], v[28:29], v[32:33]
	v_div_fixup_f64 v[26:27], v[26:27], v[16:17], s[0:1]
	v_mul_f64 v[30:31], v[26:27], v[26:27]
	v_mov_b32_e32 v28, 0x4c6c651b
	v_mov_b32_e32 v29, 0x3f48f92c
	v_fmac_f64_e32 v[28:29], 0, v[30:31]
	v_mov_b32_e32 v32, 0xa3fec4b6
	v_mov_b32_e32 v33, 0x3fb2b948
	v_fmac_f64_e32 v[32:33], v[30:31], v[28:29]
	;; [unrolled: 3-line block ×7, first 2 shown]
	v_fmac_f64_e32 v[34:35], v[30:31], v[28:29]
	v_mov_b32_e32 v28, 0xb850eed6
	v_mov_b32_e32 v29, 0x3ff1aea9
	v_fmac_f64_e32 v[28:29], v[30:31], v[34:35]
	v_mov_b32_e32 v34, 0xf7d251a1
	v_mov_b32_e32 v35, 0x40144ba2
	;; [unrolled: 3-line block ×5, first 2 shown]
	v_fmac_f64_e32 v[28:29], 0, v[30:31]
	v_fmac_f64_e32 v[36:37], v[30:31], v[28:29]
	v_mov_b32_e32 v28, 0x9acf1c67
	v_mov_b32_e32 v29, 0x4052f4b9
	v_fmac_f64_e32 v[28:29], v[30:31], v[36:37]
	v_mov_b32_e32 v36, 0x47aa180d
	v_mov_b32_e32 v37, 0x4076ec79
	;; [unrolled: 3-line block ×6, first 2 shown]
	v_mov_b32_e32 v36, 0x60895077
	v_mov_b32_e32 v37, 0x40528f30
	v_fmac_f64_e32 v[28:29], v[30:31], v[38:39]
	v_fmac_f64_e32 v[36:37], 0, v[30:31]
	v_mov_b32_e32 v38, 0xa20e5f6f
	v_mov_b32_e32 v39, 0x409081cb
	v_fmac_f64_e32 v[38:39], v[30:31], v[36:37]
	v_mov_b32_e32 v36, 0x1bfdfe81
	v_mov_b32_e32 v37, 0x40b37a69
	;; [unrolled: 3-line block ×5, first 2 shown]
	v_fma_f64 v[34:35], v[30:31], v[34:35], 1.0
	v_fmac_f64_e32 v[38:39], v[30:31], v[36:37]
	v_fma_f64 v[36:37], v[30:31], v[32:33], 1.0
	v_div_scale_f64 v[40:41], s[0:1], v[34:35], v[34:35], v[36:37]
	v_rcp_f64_e32 v[42:43], v[40:41]
	v_mov_b32_e32 v32, 0x6ae75997
	v_mov_b32_e32 v33, 0x4075017f
	v_fmac_f64_e32 v[32:33], v[30:31], v[38:39]
	v_fma_f64 v[30:31], -v[40:41], v[42:43], 1.0
	v_fmac_f64_e32 v[42:43], v[42:43], v[30:31]
	v_fma_f64 v[30:31], -v[40:41], v[42:43], 1.0
	v_fmac_f64_e32 v[42:43], v[42:43], v[30:31]
	v_div_scale_f64 v[30:31], vcc, v[36:37], v[34:35], v[36:37]
	v_mul_f64 v[38:39], v[30:31], v[42:43]
	v_fma_f64 v[30:31], -v[40:41], v[38:39], v[30:31]
	s_mov_b32 s0, 0x9037ab78
	s_nop 0
	v_div_fmas_f64 v[30:31], v[30:31], v[42:43], v[38:39]
	s_mov_b32 s1, 0x3e21eeb6
	s_mov_b32 s8, 0x46cc5e42
	v_div_fixup_f64 v[30:31], v[30:31], v[34:35], v[36:37]
	v_mul_f64 v[34:35], v[18:19], v[18:19]
	s_mov_b32 s9, 0xbda907db
	v_mov_b64_e32 v[42:43], s[0:1]
	s_mov_b32 s10, 0xa17f65f6
	v_mul_f64 v[36:37], v[34:35], 0.5
	v_fma_f64 v[44:45], s[8:9], v[34:35], v[42:43]
	s_mov_b32 s11, 0xbe927e4f
	s_mov_b32 s12, 0x19f4ec90
	v_add_f64 v[38:39], -v[36:37], 1.0
	v_fma_f64 v[44:45], v[34:35], v[44:45], s[10:11]
	s_mov_b32 s13, 0x3efa01a0
	s_mov_b32 s14, 0x16c16967
	v_add_f64 v[40:41], -v[38:39], 1.0
	v_fma_f64 v[44:45], v[34:35], v[44:45], s[12:13]
	s_mov_b32 s15, 0xbf56c16c
	s_mov_b32 s16, 0x55555555
	v_add_f64 v[36:37], v[40:41], -v[36:37]
	v_fma_f64 v[44:45], v[34:35], v[44:45], s[14:15]
	s_mov_b32 s17, 0x3fa55555
	v_mul_f64 v[40:41], v[34:35], v[34:35]
	v_fma_f64 v[44:45], v[34:35], v[44:45], s[16:17]
	v_fma_f64 v[36:37], v[18:19], -v[20:21], v[36:37]
	s_mov_b32 s0, 0xb42fdfa7
	v_fmac_f64_e32 v[36:37], v[40:41], v[44:45]
	s_mov_b32 s1, 0xbe5ae600
	s_mov_b32 s18, 0xf9a43bb8
	v_add_f64 v[36:37], v[38:39], v[36:37]
	s_mov_b32 s19, 0x3de5e0b2
	v_mov_b64_e32 v[38:39], s[0:1]
	s_mov_b32 s20, 0x796cde01
	v_fma_f64 v[40:41], s[18:19], v[34:35], v[38:39]
	s_mov_b32 s21, 0x3ec71de3
	s_mov_b32 s22, 0x19e83e5c
	v_fma_f64 v[40:41], v[34:35], v[40:41], s[20:21]
	s_mov_b32 s23, 0xbf2a01a0
	;; [unrolled: 3-line block ×3, first 2 shown]
	v_fma_f64 v[40:41], v[34:35], v[40:41], s[24:25]
	v_mul_f64 v[44:45], v[18:19], -v[34:35]
	v_mul_f64 v[46:47], v[20:21], 0.5
	v_fmac_f64_e32 v[46:47], v[44:45], v[40:41]
	v_fma_f64 v[20:21], v[34:35], v[46:47], -v[20:21]
	s_mov_b32 s27, 0xbfc55555
	s_mov_b32 s26, s16
	v_fmac_f64_e32 v[20:21], s[26:27], v[44:45]
	v_and_b32_e32 v5, 1, v1
	v_add_f64 v[18:19], v[18:19], -v[20:21]
	v_cmp_eq_u32_e32 vcc, 0, v5
	v_lshlrev_b32_e32 v1, 30, v1
	s_movk_i32 s29, 0x1f8
	v_cndmask_b32_e32 v5, v36, v18, vcc
	v_cndmask_b32_e32 v7, v37, v19, vcc
	v_div_scale_f64 v[18:19], s[0:1], v[32:33], v[32:33], v[28:29]
	v_rcp_f64_e32 v[20:21], v[18:19]
	v_xor_b32_e32 v1, v1, v11
	s_brev_b32 s28, 1
	v_cmp_class_f64_e64 s[0:1], v[10:11], s29
	v_fma_f64 v[34:35], -v[18:19], v[20:21], 1.0
	v_fmac_f64_e32 v[20:21], v[20:21], v[34:35]
	v_fma_f64 v[34:35], -v[18:19], v[20:21], 1.0
	v_fmac_f64_e32 v[20:21], v[20:21], v[34:35]
	v_div_scale_f64 v[34:35], vcc, v[28:29], v[32:33], v[28:29]
	v_mul_f64 v[36:37], v[34:35], v[20:21]
	v_fma_f64 v[18:19], -v[18:19], v[36:37], v[34:35]
	v_bitop3_b32 v1, v7, v1, s28 bitop3:0x78
	s_nop 0
	v_div_fmas_f64 v[18:19], v[18:19], v[20:21], v[36:37]
	v_div_fixup_f64 v[18:19], v[18:19], v[32:33], v[28:29]
	v_mul_f64 v[20:21], v[22:23], v[22:23]
	v_mul_f64 v[18:19], v[26:27], v[18:19]
	v_mul_f64 v[26:27], v[20:21], 0.5
	v_fmac_f64_e32 v[42:43], s[8:9], v[20:21]
	v_add_f64 v[28:29], -v[26:27], 1.0
	v_fma_f64 v[34:35], v[20:21], v[42:43], s[10:11]
	v_add_f64 v[32:33], -v[28:29], 1.0
	v_fma_f64 v[34:35], v[20:21], v[34:35], s[12:13]
	v_add_f64 v[26:27], v[32:33], -v[26:27]
	v_fma_f64 v[34:35], v[20:21], v[34:35], s[14:15]
	v_mul_f64 v[32:33], v[20:21], v[20:21]
	v_fma_f64 v[34:35], v[20:21], v[34:35], s[16:17]
	v_fma_f64 v[26:27], v[22:23], -v[24:25], v[26:27]
	v_fmac_f64_e32 v[26:27], v[32:33], v[34:35]
	v_fmac_f64_e32 v[38:39], s[18:19], v[20:21]
	v_add_f64 v[26:27], v[28:29], v[26:27]
	v_fma_f64 v[28:29], v[20:21], v[38:39], s[20:21]
	v_fma_f64 v[28:29], v[20:21], v[28:29], s[22:23]
	;; [unrolled: 1-line block ×3, first 2 shown]
	v_mul_f64 v[32:33], v[22:23], -v[20:21]
	v_mul_f64 v[34:35], v[24:25], 0.5
	v_fmac_f64_e32 v[34:35], v[32:33], v[28:29]
	v_fma_f64 v[20:21], v[20:21], v[34:35], -v[24:25]
	v_fmac_f64_e32 v[20:21], s[26:27], v[32:33]
	v_cndmask_b32_e64 v10, 0, v5, s[0:1]
	v_mov_b32_e32 v5, 0x7ff80000
	v_add_f64 v[20:21], v[22:23], -v[20:21]
	v_and_b32_e32 v7, 1, v3
	v_cndmask_b32_e64 v11, v5, v1, s[0:1]
	v_xor_b32_e32 v1, 0x80000000, v21
	v_cmp_eq_u32_e32 vcc, 0, v7
	v_lshlrev_b32_e32 v3, 30, v3
	s_nop 0
	v_cndmask_b32_e32 v1, v1, v27, vcc
	v_cndmask_b32_e32 v7, v20, v26, vcc
	v_bitop3_b32 v1, v1, v3, s28 bitop3:0x78
	v_cndmask_b32_e64 v20, 0, v7, s[0:1]
	v_cndmask_b32_e64 v21, v5, v1, s[0:1]
	s_mov_b32 s0, 0
	s_brev_b32 s1, 8
	v_mov_b32_e32 v1, 0x100
	v_cmp_gt_f64_e32 vcc, s[0:1], v[16:17]
	v_mul_f64 v[18:19], v[18:19], v[20:21]
	v_fmac_f64_e32 v[18:19], v[30:31], v[10:11]
	v_cndmask_b32_e32 v1, 0, v1, vcc
	v_ldexp_f64 v[10:11], v[16:17], v1
	v_rsq_f64_e32 v[16:17], v[10:11]
	v_mov_b32_e32 v1, 0xffffff80
	v_cndmask_b32_e32 v1, 0, v1, vcc
	s_mov_b32 s0, 0x33d43651
	v_mul_f64 v[20:21], v[10:11], v[16:17]
	v_mul_f64 v[16:17], v[16:17], 0.5
	v_fma_f64 v[22:23], -v[16:17], v[20:21], 0.5
	v_fmac_f64_e32 v[20:21], v[20:21], v[22:23]
	v_fma_f64 v[24:25], -v[20:21], v[20:21], v[10:11]
	v_fmac_f64_e32 v[16:17], v[16:17], v[22:23]
	v_fmac_f64_e32 v[20:21], v[24:25], v[16:17]
	v_fma_f64 v[22:23], -v[20:21], v[20:21], v[10:11]
	v_fmac_f64_e32 v[20:21], v[22:23], v[16:17]
	v_ldexp_f64 v[16:17], v[20:21], v1
	v_mov_b32_e32 v1, 0x260
	s_mov_b32 s1, 0x3fe98845
	v_cmp_class_f64_e32 vcc, v[10:11], v1
	v_mul_f64 v[18:19], v[18:19], s[0:1]
	s_nop 0
	v_cndmask_b32_e32 v11, v17, v11, vcc
	v_cndmask_b32_e32 v10, v16, v10, vcc
	v_div_scale_f64 v[16:17], s[0:1], v[10:11], v[10:11], v[18:19]
	v_rcp_f64_e32 v[20:21], v[16:17]
	s_nop 0
	v_fma_f64 v[22:23], -v[16:17], v[20:21], 1.0
	v_fmac_f64_e32 v[20:21], v[20:21], v[22:23]
	v_fma_f64 v[22:23], -v[16:17], v[20:21], 1.0
	v_fmac_f64_e32 v[20:21], v[20:21], v[22:23]
	v_div_scale_f64 v[22:23], vcc, v[18:19], v[10:11], v[18:19]
	v_mul_f64 v[24:25], v[22:23], v[20:21]
	v_fma_f64 v[16:17], -v[16:17], v[24:25], v[22:23]
	s_nop 1
	v_div_fmas_f64 v[16:17], v[16:17], v[20:21], v[24:25]
	v_div_fixup_f64 v[10:11], v[16:17], v[10:11], v[18:19]
.LBB7_90:
	s_or_b64 exec, exec, s[2:3]
	global_load_dwordx2 v[16:17], v14, s[6:7]
	s_mov_b32 s0, 0
	s_mov_b32 s1, 0x40140000
                                        ; implicit-def: $vgpr14_vgpr15
	s_waitcnt vmcnt(0)
	v_cmp_ge_f64_e32 vcc, s[0:1], v[16:17]
	s_and_saveexec_b64 s[0:1], vcc
	s_xor_b64 s[0:1], exec, s[0:1]
	s_cbranch_execz .LBB7_96
; %bb.91:
	v_mov_b32_e32 v14, 0
	v_cmp_neq_f64_e32 vcc, 0, v[16:17]
	v_mov_b32_e32 v15, 0xfff00000
	s_and_saveexec_b64 s[2:3], vcc
	s_cbranch_execz .LBB7_95
; %bb.92:
	v_mov_b32_e32 v14, 0
	v_cmp_nge_f64_e32 vcc, 0, v[16:17]
	v_mov_b32_e32 v15, 0x7ff80000
	s_and_saveexec_b64 s[8:9], vcc
	s_cbranch_execz .LBB7_94
; %bb.93:
	v_mul_f64 v[14:15], v[16:17], v[16:17]
	v_mov_b32_e32 v18, 0x62f9b6c5
	v_mov_b32_e32 v19, 0x41d2d2be
	v_fmac_f64_e32 v[18:19], 0, v[14:15]
	v_mov_b32_e32 v20, 0x58836521
	v_mov_b32_e32 v21, 0xc262d72d
	v_fmac_f64_e32 v[20:21], v[14:15], v[18:19]
	;; [unrolled: 3-line block ×14, first 2 shown]
	v_div_scale_f64 v[18:19], s[10:11], v[22:23], v[22:23], v[20:21]
	v_rcp_f64_e32 v[24:25], v[18:19]
	v_mov_b32_e32 v30, 0xd438c6b
	v_mov_b32_e32 v31, 0x425a52ba
	;; [unrolled: 1-line block ×3, first 2 shown]
	v_fma_f64 v[26:27], -v[18:19], v[24:25], 1.0
	v_fmac_f64_e32 v[24:25], v[24:25], v[26:27]
	v_fma_f64 v[26:27], -v[18:19], v[24:25], 1.0
	v_fmac_f64_e32 v[24:25], v[24:25], v[26:27]
	v_div_scale_f64 v[26:27], vcc, v[20:21], v[22:23], v[20:21]
	v_mul_f64 v[28:29], v[26:27], v[24:25]
	v_fma_f64 v[18:19], -v[18:19], v[28:29], v[26:27]
	v_mov_b32_e32 v26, 0x4cda4fc5
	v_mov_b32_e32 v27, 0xc1cad23c
	v_fmac_f64_e32 v[26:27], 0, v[14:15]
	v_fmac_f64_e32 v[30:31], v[14:15], v[26:27]
	v_mov_b32_e32 v26, 0xe6ccf175
	v_mov_b32_e32 v27, 0xc2d08a92
	v_fmac_f64_e32 v[26:27], v[14:15], v[30:31]
	v_mov_b32_e32 v30, 0x1b7086e7
	v_mov_b32_e32 v31, 0x408366b1
	v_fmac_f64_e32 v[30:31], 0, v[14:15]
	v_mov_b32_e32 v33, 0x410f5eda
	v_fmac_f64_e32 v[32:33], v[14:15], v[30:31]
	v_mov_b32_e32 v30, 0xdc92a1b1
	v_mov_b32_e32 v31, 0x4193e954
	v_fmac_f64_e32 v[30:31], v[14:15], v[32:33]
	v_mov_b32_e32 v32, 0x7befeac1
	;; [unrolled: 3-line block ×7, first 2 shown]
	v_mov_b32_e32 v31, 0x432a2b42
	v_fmac_f64_e32 v[30:31], v[14:15], v[26:27]
	v_div_scale_f64 v[14:15], s[10:11], v[32:33], v[32:33], v[30:31]
	v_rcp_f64_e32 v[26:27], v[14:15]
	v_div_fmas_f64 v[18:19], v[18:19], v[24:25], v[28:29]
	v_div_fixup_f64 v[18:19], v[18:19], v[22:23], v[20:21]
	s_mov_b32 s10, 0x55555555
	v_fma_f64 v[20:21], -v[14:15], v[26:27], 1.0
	v_fmac_f64_e32 v[26:27], v[26:27], v[20:21]
	v_fma_f64 v[20:21], -v[14:15], v[26:27], 1.0
	v_fmac_f64_e32 v[26:27], v[26:27], v[20:21]
	v_div_scale_f64 v[20:21], vcc, v[30:31], v[32:33], v[30:31]
	v_mul_f64 v[22:23], v[20:21], v[26:27]
	v_fma_f64 v[14:15], -v[14:15], v[22:23], v[20:21]
	v_mov_b32_e32 v20, 0x4189822c
	s_nop 0
	v_div_fmas_f64 v[14:15], v[14:15], v[26:27], v[22:23]
	v_div_fixup_f64 v[14:15], v[14:15], v[32:33], v[30:31]
	v_mov_b32_e32 v21, 0xc02d5d2b
	v_mul_f64 v[14:15], v[16:17], v[14:15]
	v_fmac_f64_e32 v[20:21], v[16:17], v[16:17]
	v_mul_f64 v[14:15], v[20:21], v[14:15]
	v_mov_b32_e32 v20, 0x6072a432
	v_mov_b32_e32 v21, 0xc0489bf6
	v_fmac_f64_e32 v[20:21], v[16:17], v[16:17]
	v_mul_f64 v[14:15], v[20:21], v[14:15]
	v_frexp_mant_f64_e32 v[20:21], v[16:17]
	s_mov_b32 s11, 0x3fe55555
	v_cmp_gt_f64_e32 vcc, s[10:11], v[20:21]
	s_mov_b32 s10, 0xbf559e2b
	s_mov_b32 s11, 0x3fc3ab76
	v_cndmask_b32_e64 v3, 0, 1, vcc
	v_ldexp_f64 v[20:21], v[20:21], v3
	v_add_f64 v[22:23], v[20:21], 1.0
	v_rcp_f64_e32 v[24:25], v[22:23]
	v_add_f64 v[28:29], v[22:23], -1.0
	v_add_f64 v[26:27], v[20:21], -1.0
	v_add_f64 v[20:21], v[20:21], -v[28:29]
	v_fma_f64 v[28:29], -v[22:23], v[24:25], 1.0
	v_fmac_f64_e32 v[24:25], v[28:29], v[24:25]
	v_fma_f64 v[28:29], -v[22:23], v[24:25], 1.0
	v_fmac_f64_e32 v[24:25], v[28:29], v[24:25]
	v_mul_f64 v[28:29], v[26:27], v[24:25]
	v_mul_f64 v[30:31], v[22:23], v[28:29]
	v_fma_f64 v[22:23], v[28:29], v[22:23], -v[30:31]
	v_fmac_f64_e32 v[22:23], v[28:29], v[20:21]
	v_add_f64 v[20:21], v[30:31], v[22:23]
	v_add_f64 v[32:33], v[26:27], -v[20:21]
	v_add_f64 v[30:31], v[20:21], -v[30:31]
	;; [unrolled: 1-line block ×5, first 2 shown]
	v_add_f64 v[20:21], v[22:23], v[20:21]
	v_add_f64 v[20:21], v[32:33], v[20:21]
	v_mul_f64 v[20:21], v[24:25], v[20:21]
	v_add_f64 v[22:23], v[28:29], v[20:21]
	v_add_f64 v[24:25], v[22:23], -v[28:29]
	v_add_f64 v[20:21], v[20:21], -v[24:25]
	v_mul_f64 v[24:25], v[22:23], v[22:23]
	v_mov_b32_e32 v26, 0x6b47b09a
	v_mov_b32_e32 v27, 0x3fc38538
	v_fmac_f64_e32 v[26:27], s[10:11], v[24:25]
	v_mov_b32_e32 v28, 0xd7f4df2e
	v_mov_b32_e32 v29, 0x3fc7474d
	v_fmac_f64_e32 v[28:29], v[24:25], v[26:27]
	;; [unrolled: 3-line block ×6, first 2 shown]
	v_ldexp_f64 v[26:27], v[22:23], 1
	v_mul_f64 v[22:23], v[22:23], v[24:25]
	v_mul_f64 v[22:23], v[22:23], v[28:29]
	v_add_f64 v[24:25], v[26:27], v[22:23]
	v_add_f64 v[26:27], v[24:25], -v[26:27]
	v_ldexp_f64 v[20:21], v[20:21], 1
	v_add_f64 v[22:23], v[22:23], -v[26:27]
	v_add_f64 v[20:21], v[20:21], v[22:23]
	v_frexp_exp_i32_f64_e32 v1, v[16:17]
	v_add_f64 v[22:23], v[24:25], v[20:21]
	v_subbrev_co_u32_e32 v1, vcc, 0, v1, vcc
	v_add_f64 v[24:25], v[22:23], -v[24:25]
	s_mov_b32 s10, 0xfefa39ef
	v_add_f64 v[20:21], v[20:21], -v[24:25]
	v_cvt_f64_i32_e32 v[24:25], v1
	s_mov_b32 s11, 0x3fe62e42
	v_mul_f64 v[26:27], v[24:25], s[10:11]
	v_fma_f64 v[28:29], v[24:25], s[10:11], -v[26:27]
	s_mov_b32 s10, 0x3b39803f
	s_mov_b32 s11, 0x3c7abc9e
	v_fmac_f64_e32 v[28:29], s[10:11], v[24:25]
	v_add_f64 v[24:25], v[26:27], v[28:29]
	v_add_f64 v[26:27], v[24:25], -v[26:27]
	v_add_f64 v[26:27], v[28:29], -v[26:27]
	v_add_f64 v[28:29], v[24:25], v[22:23]
	v_add_f64 v[30:31], v[28:29], -v[24:25]
	v_add_f64 v[32:33], v[28:29], -v[30:31]
	;; [unrolled: 1-line block ×4, first 2 shown]
	v_add_f64 v[22:23], v[22:23], v[24:25]
	v_add_f64 v[24:25], v[26:27], v[20:21]
	v_add_f64 v[30:31], v[24:25], -v[26:27]
	v_add_f64 v[32:33], v[24:25], -v[30:31]
	v_add_f64 v[22:23], v[24:25], v[22:23]
	v_add_f64 v[26:27], v[26:27], -v[32:33]
	v_add_f64 v[20:21], v[20:21], -v[30:31]
	v_add_f64 v[24:25], v[28:29], v[22:23]
	v_add_f64 v[20:21], v[20:21], v[26:27]
	v_add_f64 v[26:27], v[24:25], -v[28:29]
	v_div_scale_f64 v[28:29], s[10:11], v[16:17], v[16:17], -1.0
	v_rcp_f64_e32 v[30:31], v[28:29]
	v_add_f64 v[22:23], v[22:23], -v[26:27]
	v_add_f64 v[20:21], v[20:21], v[22:23]
	v_add_f64 v[20:21], v[24:25], v[20:21]
	v_fma_f64 v[22:23], -v[28:29], v[30:31], 1.0
	v_fmac_f64_e32 v[30:31], v[30:31], v[22:23]
	v_fma_f64 v[22:23], -v[28:29], v[30:31], 1.0
	v_fmac_f64_e32 v[30:31], v[30:31], v[22:23]
	v_div_scale_f64 v[22:23], vcc, -1.0, v[16:17], -1.0
	v_mul_f64 v[24:25], v[22:23], v[30:31]
	v_fma_f64 v[22:23], -v[28:29], v[24:25], v[22:23]
	s_mov_b32 s10, 0x6dc9c883
	s_nop 0
	v_div_fmas_f64 v[22:23], v[22:23], v[30:31], v[24:25]
	v_div_fixup_f64 v[22:23], v[22:23], v[16:17], -1.0
	v_fmac_f64_e32 v[22:23], v[14:15], v[20:21]
	s_mov_b32 s11, 0x3fe45f30
	v_mul_f64 v[14:15], v[22:23], s[10:11]
	v_fmac_f64_e32 v[14:15], v[16:17], v[18:19]
.LBB7_94:
	s_or_b64 exec, exec, s[8:9]
.LBB7_95:
	s_or_b64 exec, exec, s[2:3]
                                        ; implicit-def: $vgpr16_vgpr17
.LBB7_96:
	s_andn2_saveexec_b64 s[2:3], s[0:1]
	s_cbranch_execz .LBB7_106
; %bb.97:
	s_mov_b32 s0, 0x7f3321d2
	s_mov_b32 s1, 0xc002d97c
	v_add_f64 v[14:15], v[16:17], s[0:1]
	s_mov_b32 s0, 0
	s_mov_b32 s1, 0x41d00000
	v_cmp_nlt_f64_e64 s[8:9], |v[14:15]|, s[0:1]
	v_trig_preop_f64 v[30:31], |v[14:15]|, 0
	v_trig_preop_f64 v[28:29], |v[14:15]|, 1
	v_trig_preop_f64 v[26:27], |v[14:15]|, 2
                                        ; implicit-def: $vgpr1
                                        ; implicit-def: $vgpr18_vgpr19
                                        ; implicit-def: $vgpr20_vgpr21
	s_and_saveexec_b64 s[0:1], s[8:9]
	s_xor_b64 s[10:11], exec, s[0:1]
	s_cbranch_execz .LBB7_99
; %bb.98:
	s_mov_b32 s0, 0
	s_mov_b32 s1, 0x7b000000
	s_movk_i32 s12, 0xff80
	v_and_b32_e32 v1, 0x7fffffff, v15
	v_ldexp_f64 v[18:19], |v[14:15]|, s12
	v_cmp_ge_f64_e64 vcc, |v[14:15]|, s[0:1]
	s_mov_b32 s0, 0
	s_mov_b32 s1, 0x7ff00000
	v_cndmask_b32_e32 v19, v1, v19, vcc
	v_cndmask_b32_e32 v18, v14, v18, vcc
	v_mul_f64 v[22:23], v[30:31], v[18:19]
	v_mul_f64 v[20:21], v[28:29], v[18:19]
	v_fma_f64 v[24:25], v[30:31], v[18:19], -v[22:23]
	v_add_f64 v[32:33], v[20:21], v[24:25]
	v_add_f64 v[40:41], v[32:33], -v[20:21]
	v_add_f64 v[24:25], v[24:25], -v[40:41]
	;; [unrolled: 1-line block ×4, first 2 shown]
	v_add_f64 v[24:25], v[24:25], v[40:41]
	v_fma_f64 v[20:21], v[28:29], v[18:19], -v[20:21]
	v_mul_f64 v[40:41], v[26:27], v[18:19]
	v_add_f64 v[42:43], v[40:41], v[20:21]
	v_add_f64 v[34:35], v[22:23], v[32:33]
	;; [unrolled: 1-line block ×3, first 2 shown]
	v_ldexp_f64 v[36:37], v[34:35], -2
	v_add_f64 v[22:23], v[34:35], -v[22:23]
	v_add_f64 v[34:35], v[44:45], -v[42:43]
	;; [unrolled: 1-line block ×5, first 2 shown]
	v_add_f64 v[24:25], v[24:25], v[34:35]
	v_add_f64 v[34:35], v[42:43], -v[40:41]
	v_add_f64 v[20:21], v[20:21], -v[34:35]
	v_add_f64 v[34:35], v[42:43], -v[34:35]
	v_add_f64 v[34:35], v[40:41], -v[34:35]
	v_add_f64 v[22:23], v[32:33], -v[22:23]
	v_add_f64 v[20:21], v[20:21], v[34:35]
	v_fract_f64_e32 v[38:39], v[36:37]
	v_add_f64 v[32:33], v[22:23], v[44:45]
	v_add_f64 v[20:21], v[20:21], v[24:25]
	v_fma_f64 v[18:19], v[26:27], v[18:19], -v[40:41]
	v_add_f64 v[22:23], v[32:33], -v[22:23]
	v_add_f64 v[18:19], v[18:19], v[20:21]
	v_ldexp_f64 v[20:21], v[38:39], 2
	v_cmp_neq_f64_e64 vcc, |v[36:37]|, s[0:1]
	v_add_f64 v[22:23], v[44:45], -v[22:23]
	v_add_f64 v[18:19], v[22:23], v[18:19]
	v_cndmask_b32_e32 v21, 0, v21, vcc
	v_cndmask_b32_e32 v20, 0, v20, vcc
	v_add_f64 v[22:23], v[32:33], v[20:21]
	v_mov_b32_e32 v1, 0x40100000
	v_cmp_gt_f64_e32 vcc, 0, v[22:23]
	v_mov_b32_e32 v22, 0
	v_mov_b32_e32 v3, 0x3ff00000
	v_cndmask_b32_e32 v23, 0, v1, vcc
	v_add_f64 v[20:21], v[20:21], v[22:23]
	v_add_f64 v[24:25], v[32:33], v[20:21]
	v_cvt_i32_f64_e32 v1, v[24:25]
	v_cvt_f64_i32_e32 v[24:25], v1
	v_add_f64 v[20:21], v[20:21], -v[24:25]
	v_add_f64 v[24:25], v[32:33], v[20:21]
	v_add_f64 v[20:21], v[24:25], -v[20:21]
	v_cmp_le_f64_e32 vcc, 0.5, v[24:25]
	v_add_f64 v[20:21], v[32:33], -v[20:21]
	v_add_f64 v[18:19], v[18:19], v[20:21]
	v_cndmask_b32_e32 v23, 0, v3, vcc
	v_addc_co_u32_e64 v1, s[0:1], 0, v1, vcc
	v_add_f64 v[20:21], v[24:25], -v[22:23]
	v_add_f64 v[22:23], v[20:21], v[18:19]
	s_mov_b32 s0, 0x54442d18
	v_add_f64 v[20:21], v[22:23], -v[20:21]
	s_mov_b32 s1, 0x3ff921fb
	v_add_f64 v[18:19], v[18:19], -v[20:21]
	v_mul_f64 v[20:21], v[22:23], s[0:1]
	s_mov_b32 s12, 0x33145c07
	v_fma_f64 v[24:25], v[22:23], s[0:1], -v[20:21]
	s_mov_b32 s13, 0x3c91a626
	v_fmac_f64_e32 v[24:25], s[12:13], v[22:23]
	v_fmac_f64_e32 v[24:25], s[0:1], v[18:19]
	v_add_f64 v[18:19], v[20:21], v[24:25]
	v_add_f64 v[20:21], v[18:19], -v[20:21]
	v_add_f64 v[20:21], v[24:25], -v[20:21]
	s_andn2_saveexec_b64 s[0:1], s[10:11]
	s_cbranch_execz .LBB7_101
	s_branch .LBB7_100
.LBB7_99:
	s_andn2_saveexec_b64 s[0:1], s[10:11]
	s_cbranch_execz .LBB7_101
.LBB7_100:
	s_mov_b32 s10, 0x6dc9c883
	s_mov_b32 s11, 0x3fe45f30
	v_mul_f64 v[18:19], |v[14:15]|, s[10:11]
	s_mov_b32 s10, 0x54442d18
	v_rndne_f64_e32 v[22:23], v[18:19]
	s_mov_b32 s11, 0xbff921fb
	v_fma_f64 v[18:19], v[22:23], s[10:11], |v[14:15]|
	s_mov_b32 s11, 0xbc91a626
	s_mov_b32 s10, 0x33145c00
	v_mul_f64 v[24:25], v[22:23], s[10:11]
	v_add_f64 v[34:35], v[18:19], v[24:25]
	v_fma_f64 v[20:21], s[10:11], v[22:23], v[18:19]
	s_mov_b32 s11, 0x3c91a626
	v_add_f64 v[18:19], v[18:19], -v[34:35]
	v_fma_f64 v[32:33], s[10:11], v[22:23], v[24:25]
	v_add_f64 v[18:19], v[18:19], v[24:25]
	v_add_f64 v[24:25], v[34:35], -v[20:21]
	v_add_f64 v[18:19], v[24:25], v[18:19]
	s_mov_b32 s10, 0x252049c0
	v_add_f64 v[24:25], v[18:19], -v[32:33]
	s_mov_b32 s11, 0xb97b839a
	v_fmac_f64_e32 v[24:25], s[10:11], v[22:23]
	v_add_f64 v[18:19], v[20:21], v[24:25]
	v_add_f64 v[20:21], v[18:19], -v[20:21]
	v_add_f64 v[20:21], v[24:25], -v[20:21]
	v_cvt_i32_f64_e32 v1, v[22:23]
.LBB7_101:
	s_or_b64 exec, exec, s[0:1]
                                        ; implicit-def: $vgpr3
                                        ; implicit-def: $vgpr22_vgpr23
                                        ; implicit-def: $vgpr24_vgpr25
	s_and_saveexec_b64 s[0:1], s[8:9]
	s_xor_b64 s[8:9], exec, s[0:1]
	s_cbranch_execz .LBB7_103
; %bb.102:
	s_mov_b32 s0, 0
	s_mov_b32 s1, 0x7b000000
	s_movk_i32 s10, 0xff80
	v_and_b32_e32 v3, 0x7fffffff, v15
	v_ldexp_f64 v[22:23], |v[14:15]|, s10
	v_cmp_ge_f64_e64 vcc, |v[14:15]|, s[0:1]
	s_mov_b32 s0, 0
	s_mov_b32 s1, 0x7ff00000
	v_cndmask_b32_e32 v23, v3, v23, vcc
	v_cndmask_b32_e32 v22, v14, v22, vcc
	v_mul_f64 v[32:33], v[30:31], v[22:23]
	v_mul_f64 v[24:25], v[28:29], v[22:23]
	v_fma_f64 v[30:31], v[30:31], v[22:23], -v[32:33]
	v_add_f64 v[34:35], v[24:25], v[30:31]
	v_add_f64 v[42:43], v[34:35], -v[24:25]
	v_add_f64 v[30:31], v[30:31], -v[42:43]
	;; [unrolled: 1-line block ×4, first 2 shown]
	v_fma_f64 v[24:25], v[28:29], v[22:23], -v[24:25]
	v_mul_f64 v[28:29], v[26:27], v[22:23]
	v_add_f64 v[30:31], v[30:31], v[42:43]
	v_add_f64 v[42:43], v[28:29], v[24:25]
	v_add_f64 v[36:37], v[32:33], v[34:35]
	v_add_f64 v[44:45], v[42:43], v[30:31]
	v_ldexp_f64 v[38:39], v[36:37], -2
	v_add_f64 v[32:33], v[36:37], -v[32:33]
	v_add_f64 v[36:37], v[44:45], -v[42:43]
	;; [unrolled: 1-line block ×5, first 2 shown]
	v_add_f64 v[30:31], v[30:31], v[36:37]
	v_add_f64 v[36:37], v[42:43], -v[28:29]
	v_add_f64 v[24:25], v[24:25], -v[36:37]
	v_add_f64 v[36:37], v[42:43], -v[36:37]
	v_add_f64 v[36:37], v[28:29], -v[36:37]
	v_add_f64 v[24:25], v[24:25], v[36:37]
	v_fract_f64_e32 v[40:41], v[38:39]
	v_add_f64 v[24:25], v[24:25], v[30:31]
	v_fma_f64 v[22:23], v[26:27], v[22:23], -v[28:29]
	v_add_f64 v[32:33], v[34:35], -v[32:33]
	v_add_f64 v[22:23], v[22:23], v[24:25]
	v_ldexp_f64 v[24:25], v[40:41], 2
	v_cmp_neq_f64_e64 vcc, |v[38:39]|, s[0:1]
	v_add_f64 v[34:35], v[32:33], v[44:45]
	v_mov_b32_e32 v3, 0x40100000
	v_cndmask_b32_e32 v25, 0, v25, vcc
	v_cndmask_b32_e32 v24, 0, v24, vcc
	v_add_f64 v[26:27], v[34:35], v[24:25]
	v_cmp_gt_f64_e32 vcc, 0, v[26:27]
	v_mov_b32_e32 v26, 0
	v_add_f64 v[32:33], v[34:35], -v[32:33]
	v_cndmask_b32_e32 v27, 0, v3, vcc
	v_add_f64 v[24:25], v[24:25], v[26:27]
	v_add_f64 v[28:29], v[34:35], v[24:25]
	v_cvt_i32_f64_e32 v3, v[28:29]
	v_cvt_f64_i32_e32 v[28:29], v3
	v_add_f64 v[24:25], v[24:25], -v[28:29]
	v_add_f64 v[28:29], v[34:35], v[24:25]
	v_add_f64 v[32:33], v[44:45], -v[32:33]
	v_add_f64 v[24:25], v[28:29], -v[24:25]
	v_cmp_le_f64_e32 vcc, 0.5, v[28:29]
	v_mov_b32_e32 v5, 0x3ff00000
	v_add_f64 v[22:23], v[32:33], v[22:23]
	v_add_f64 v[24:25], v[34:35], -v[24:25]
	v_cndmask_b32_e32 v27, 0, v5, vcc
	v_add_f64 v[22:23], v[22:23], v[24:25]
	v_addc_co_u32_e64 v3, s[0:1], 0, v3, vcc
	v_add_f64 v[24:25], v[28:29], -v[26:27]
	v_add_f64 v[26:27], v[24:25], v[22:23]
	s_mov_b32 s0, 0x54442d18
	v_add_f64 v[24:25], v[26:27], -v[24:25]
	s_mov_b32 s1, 0x3ff921fb
	v_add_f64 v[22:23], v[22:23], -v[24:25]
	v_mul_f64 v[24:25], v[26:27], s[0:1]
	s_mov_b32 s10, 0x33145c07
	v_fma_f64 v[28:29], v[26:27], s[0:1], -v[24:25]
	s_mov_b32 s11, 0x3c91a626
	v_fmac_f64_e32 v[28:29], s[10:11], v[26:27]
	v_fmac_f64_e32 v[28:29], s[0:1], v[22:23]
	v_add_f64 v[22:23], v[24:25], v[28:29]
	v_add_f64 v[24:25], v[22:23], -v[24:25]
	v_add_f64 v[24:25], v[28:29], -v[24:25]
	s_andn2_saveexec_b64 s[0:1], s[8:9]
	s_cbranch_execnz .LBB7_104
	s_branch .LBB7_105
.LBB7_103:
	s_andn2_saveexec_b64 s[0:1], s[8:9]
	s_cbranch_execz .LBB7_105
.LBB7_104:
	s_mov_b32 s8, 0x6dc9c883
	s_mov_b32 s9, 0x3fe45f30
	v_mul_f64 v[22:23], |v[14:15]|, s[8:9]
	s_mov_b32 s8, 0x54442d18
	v_rndne_f64_e32 v[26:27], v[22:23]
	s_mov_b32 s9, 0xbff921fb
	v_fma_f64 v[22:23], v[26:27], s[8:9], |v[14:15]|
	s_mov_b32 s9, 0xbc91a626
	s_mov_b32 s8, 0x33145c00
	v_mul_f64 v[28:29], v[26:27], s[8:9]
	v_add_f64 v[32:33], v[22:23], v[28:29]
	v_fma_f64 v[24:25], s[8:9], v[26:27], v[22:23]
	s_mov_b32 s9, 0x3c91a626
	v_add_f64 v[22:23], v[22:23], -v[32:33]
	v_fma_f64 v[30:31], s[8:9], v[26:27], v[28:29]
	v_add_f64 v[22:23], v[22:23], v[28:29]
	v_add_f64 v[28:29], v[32:33], -v[24:25]
	v_add_f64 v[22:23], v[28:29], v[22:23]
	s_mov_b32 s8, 0x252049c0
	v_add_f64 v[28:29], v[22:23], -v[30:31]
	s_mov_b32 s9, 0xb97b839a
	v_fmac_f64_e32 v[28:29], s[8:9], v[26:27]
	v_add_f64 v[22:23], v[24:25], v[28:29]
	v_add_f64 v[24:25], v[22:23], -v[24:25]
	v_add_f64 v[24:25], v[28:29], -v[24:25]
	v_cvt_i32_f64_e32 v3, v[26:27]
.LBB7_105:
	s_or_b64 exec, exec, s[0:1]
	s_mov_b32 s0, 0
	s_mov_b32 s1, 0x40140000
	v_div_scale_f64 v[26:27], s[8:9], v[16:17], v[16:17], s[0:1]
	v_rcp_f64_e32 v[28:29], v[26:27]
	v_mov_b32_e32 v34, 0x5948aa83
	v_mov_b32_e32 v35, 0x3fb19fdd
	;; [unrolled: 1-line block ×3, first 2 shown]
	v_fma_f64 v[30:31], -v[26:27], v[28:29], 1.0
	v_fmac_f64_e32 v[28:29], v[28:29], v[30:31]
	v_fma_f64 v[30:31], -v[26:27], v[28:29], 1.0
	v_fmac_f64_e32 v[28:29], v[28:29], v[30:31]
	v_div_scale_f64 v[30:31], vcc, s[0:1], v[16:17], s[0:1]
	v_mul_f64 v[32:33], v[30:31], v[28:29]
	v_fma_f64 v[26:27], -v[26:27], v[32:33], v[30:31]
	v_mov_b32_e32 v37, 0x4013edb5
	s_nop 0
	v_div_fmas_f64 v[26:27], v[26:27], v[28:29], v[32:33]
	v_div_fixup_f64 v[26:27], v[26:27], v[16:17], s[0:1]
	v_mul_f64 v[30:31], v[26:27], v[26:27]
	v_mov_b32_e32 v28, 0x4c6c651b
	v_mov_b32_e32 v29, 0x3f48f92c
	v_fmac_f64_e32 v[28:29], 0, v[30:31]
	v_mov_b32_e32 v32, 0xa3fec4b6
	v_mov_b32_e32 v33, 0x3fb2b948
	v_fmac_f64_e32 v[32:33], v[30:31], v[28:29]
	;; [unrolled: 3-line block ×7, first 2 shown]
	v_fmac_f64_e32 v[34:35], v[30:31], v[28:29]
	v_mov_b32_e32 v28, 0xb850eed6
	v_mov_b32_e32 v29, 0x3ff1aea9
	v_fmac_f64_e32 v[28:29], v[30:31], v[34:35]
	v_mov_b32_e32 v34, 0xf7d251a1
	v_mov_b32_e32 v35, 0x40144ba2
	v_fmac_f64_e32 v[34:35], v[30:31], v[28:29]
	v_mov_b32_e32 v28, 0xdda2fd65
	v_mov_b32_e32 v29, 0x4020ccb9
	v_fmac_f64_e32 v[28:29], v[30:31], v[34:35]
	v_mov_b32_e32 v34, 0x4762b4d9
	v_mov_b32_e32 v35, 0x4014d6dd
	v_fmac_f64_e32 v[34:35], v[30:31], v[28:29]
	v_mov_b32_e32 v28, 0x6b70ba40
	v_mov_b32_e32 v29, 0x3faa27fa
	v_fmac_f64_e32 v[28:29], 0, v[30:31]
	v_fmac_f64_e32 v[36:37], v[30:31], v[28:29]
	v_mov_b32_e32 v28, 0x9acf1c67
	v_mov_b32_e32 v29, 0x4052f4b9
	v_fmac_f64_e32 v[28:29], v[30:31], v[36:37]
	v_mov_b32_e32 v36, 0x47aa180d
	v_mov_b32_e32 v37, 0x4076ec79
	;; [unrolled: 3-line block ×6, first 2 shown]
	v_mov_b32_e32 v36, 0x60895077
	v_mov_b32_e32 v37, 0x40528f30
	v_fmac_f64_e32 v[28:29], v[30:31], v[38:39]
	v_fmac_f64_e32 v[36:37], 0, v[30:31]
	v_mov_b32_e32 v38, 0xa20e5f6f
	v_mov_b32_e32 v39, 0x409081cb
	v_fmac_f64_e32 v[38:39], v[30:31], v[36:37]
	v_mov_b32_e32 v36, 0x1bfdfe81
	v_mov_b32_e32 v37, 0x40b37a69
	;; [unrolled: 3-line block ×5, first 2 shown]
	v_fma_f64 v[34:35], v[30:31], v[34:35], 1.0
	v_fmac_f64_e32 v[38:39], v[30:31], v[36:37]
	v_fma_f64 v[36:37], v[30:31], v[32:33], 1.0
	v_div_scale_f64 v[40:41], s[0:1], v[34:35], v[34:35], v[36:37]
	v_rcp_f64_e32 v[42:43], v[40:41]
	v_mov_b32_e32 v32, 0x6ae75997
	v_mov_b32_e32 v33, 0x4075017f
	v_fmac_f64_e32 v[32:33], v[30:31], v[38:39]
	v_fma_f64 v[30:31], -v[40:41], v[42:43], 1.0
	v_fmac_f64_e32 v[42:43], v[42:43], v[30:31]
	v_fma_f64 v[30:31], -v[40:41], v[42:43], 1.0
	v_fmac_f64_e32 v[42:43], v[42:43], v[30:31]
	v_div_scale_f64 v[30:31], vcc, v[36:37], v[34:35], v[36:37]
	v_mul_f64 v[38:39], v[30:31], v[42:43]
	v_fma_f64 v[30:31], -v[40:41], v[38:39], v[30:31]
	s_mov_b32 s0, 0x9037ab78
	s_nop 0
	v_div_fmas_f64 v[30:31], v[30:31], v[42:43], v[38:39]
	s_mov_b32 s1, 0x3e21eeb6
	s_mov_b32 s8, 0x46cc5e42
	v_div_fixup_f64 v[30:31], v[30:31], v[34:35], v[36:37]
	v_mul_f64 v[34:35], v[18:19], v[18:19]
	s_mov_b32 s9, 0xbda907db
	v_mov_b64_e32 v[42:43], s[0:1]
	s_mov_b32 s10, 0xa17f65f6
	v_mul_f64 v[36:37], v[34:35], 0.5
	v_fma_f64 v[44:45], s[8:9], v[34:35], v[42:43]
	s_mov_b32 s11, 0xbe927e4f
	s_mov_b32 s12, 0x19f4ec90
	v_add_f64 v[38:39], -v[36:37], 1.0
	v_fma_f64 v[44:45], v[34:35], v[44:45], s[10:11]
	s_mov_b32 s13, 0x3efa01a0
	s_mov_b32 s14, 0x16c16967
	v_add_f64 v[40:41], -v[38:39], 1.0
	v_fma_f64 v[44:45], v[34:35], v[44:45], s[12:13]
	s_mov_b32 s15, 0xbf56c16c
	s_mov_b32 s16, 0x55555555
	v_add_f64 v[36:37], v[40:41], -v[36:37]
	v_fma_f64 v[44:45], v[34:35], v[44:45], s[14:15]
	s_mov_b32 s17, 0x3fa55555
	v_mul_f64 v[40:41], v[34:35], v[34:35]
	v_fma_f64 v[44:45], v[34:35], v[44:45], s[16:17]
	v_fma_f64 v[36:37], v[18:19], -v[20:21], v[36:37]
	s_mov_b32 s0, 0xb42fdfa7
	v_fmac_f64_e32 v[36:37], v[40:41], v[44:45]
	s_mov_b32 s1, 0xbe5ae600
	s_mov_b32 s18, 0xf9a43bb8
	v_add_f64 v[36:37], v[38:39], v[36:37]
	s_mov_b32 s19, 0x3de5e0b2
	v_mov_b64_e32 v[38:39], s[0:1]
	s_mov_b32 s20, 0x796cde01
	v_fma_f64 v[40:41], s[18:19], v[34:35], v[38:39]
	s_mov_b32 s21, 0x3ec71de3
	s_mov_b32 s22, 0x19e83e5c
	v_fma_f64 v[40:41], v[34:35], v[40:41], s[20:21]
	s_mov_b32 s23, 0xbf2a01a0
	;; [unrolled: 3-line block ×3, first 2 shown]
	v_fma_f64 v[40:41], v[34:35], v[40:41], s[24:25]
	v_mul_f64 v[44:45], v[18:19], -v[34:35]
	v_mul_f64 v[46:47], v[20:21], 0.5
	v_fmac_f64_e32 v[46:47], v[44:45], v[40:41]
	v_fma_f64 v[20:21], v[34:35], v[46:47], -v[20:21]
	s_mov_b32 s27, 0xbfc55555
	s_mov_b32 s26, s16
	v_fmac_f64_e32 v[20:21], s[26:27], v[44:45]
	v_and_b32_e32 v5, 1, v1
	v_add_f64 v[18:19], v[18:19], -v[20:21]
	v_cmp_eq_u32_e32 vcc, 0, v5
	v_lshlrev_b32_e32 v1, 30, v1
	s_movk_i32 s29, 0x1f8
	v_cndmask_b32_e32 v5, v36, v18, vcc
	v_cndmask_b32_e32 v7, v37, v19, vcc
	v_div_scale_f64 v[18:19], s[0:1], v[32:33], v[32:33], v[28:29]
	v_rcp_f64_e32 v[20:21], v[18:19]
	v_xor_b32_e32 v1, v1, v15
	s_brev_b32 s28, 1
	v_cmp_class_f64_e64 s[0:1], v[14:15], s29
	v_fma_f64 v[34:35], -v[18:19], v[20:21], 1.0
	v_fmac_f64_e32 v[20:21], v[20:21], v[34:35]
	v_fma_f64 v[34:35], -v[18:19], v[20:21], 1.0
	v_fmac_f64_e32 v[20:21], v[20:21], v[34:35]
	v_div_scale_f64 v[34:35], vcc, v[28:29], v[32:33], v[28:29]
	v_mul_f64 v[36:37], v[34:35], v[20:21]
	v_fma_f64 v[18:19], -v[18:19], v[36:37], v[34:35]
	v_bitop3_b32 v1, v7, v1, s28 bitop3:0x78
	s_nop 0
	v_div_fmas_f64 v[18:19], v[18:19], v[20:21], v[36:37]
	v_div_fixup_f64 v[18:19], v[18:19], v[32:33], v[28:29]
	v_mul_f64 v[20:21], v[22:23], v[22:23]
	v_mul_f64 v[18:19], v[26:27], v[18:19]
	v_mul_f64 v[26:27], v[20:21], 0.5
	v_fmac_f64_e32 v[42:43], s[8:9], v[20:21]
	v_add_f64 v[28:29], -v[26:27], 1.0
	v_fma_f64 v[34:35], v[20:21], v[42:43], s[10:11]
	v_add_f64 v[32:33], -v[28:29], 1.0
	v_fma_f64 v[34:35], v[20:21], v[34:35], s[12:13]
	v_add_f64 v[26:27], v[32:33], -v[26:27]
	v_fma_f64 v[34:35], v[20:21], v[34:35], s[14:15]
	v_mul_f64 v[32:33], v[20:21], v[20:21]
	v_fma_f64 v[34:35], v[20:21], v[34:35], s[16:17]
	v_fma_f64 v[26:27], v[22:23], -v[24:25], v[26:27]
	v_fmac_f64_e32 v[26:27], v[32:33], v[34:35]
	v_fmac_f64_e32 v[38:39], s[18:19], v[20:21]
	v_add_f64 v[26:27], v[28:29], v[26:27]
	v_fma_f64 v[28:29], v[20:21], v[38:39], s[20:21]
	v_fma_f64 v[28:29], v[20:21], v[28:29], s[22:23]
	;; [unrolled: 1-line block ×3, first 2 shown]
	v_mul_f64 v[32:33], v[22:23], -v[20:21]
	v_mul_f64 v[34:35], v[24:25], 0.5
	v_fmac_f64_e32 v[34:35], v[32:33], v[28:29]
	v_fma_f64 v[20:21], v[20:21], v[34:35], -v[24:25]
	v_fmac_f64_e32 v[20:21], s[26:27], v[32:33]
	v_cndmask_b32_e64 v14, 0, v5, s[0:1]
	v_mov_b32_e32 v5, 0x7ff80000
	v_add_f64 v[20:21], v[22:23], -v[20:21]
	v_and_b32_e32 v7, 1, v3
	v_cndmask_b32_e64 v15, v5, v1, s[0:1]
	v_xor_b32_e32 v1, 0x80000000, v21
	v_cmp_eq_u32_e32 vcc, 0, v7
	v_lshlrev_b32_e32 v3, 30, v3
	s_nop 0
	v_cndmask_b32_e32 v1, v1, v27, vcc
	v_cndmask_b32_e32 v7, v20, v26, vcc
	v_bitop3_b32 v1, v1, v3, s28 bitop3:0x78
	v_cndmask_b32_e64 v20, 0, v7, s[0:1]
	v_cndmask_b32_e64 v21, v5, v1, s[0:1]
	s_mov_b32 s0, 0
	s_brev_b32 s1, 8
	v_mov_b32_e32 v1, 0x100
	v_cmp_gt_f64_e32 vcc, s[0:1], v[16:17]
	v_mul_f64 v[18:19], v[18:19], v[20:21]
	v_fmac_f64_e32 v[18:19], v[30:31], v[14:15]
	v_cndmask_b32_e32 v1, 0, v1, vcc
	v_ldexp_f64 v[14:15], v[16:17], v1
	v_rsq_f64_e32 v[16:17], v[14:15]
	v_mov_b32_e32 v1, 0xffffff80
	v_cndmask_b32_e32 v1, 0, v1, vcc
	s_mov_b32 s0, 0x33d43651
	v_mul_f64 v[20:21], v[14:15], v[16:17]
	v_mul_f64 v[16:17], v[16:17], 0.5
	v_fma_f64 v[22:23], -v[16:17], v[20:21], 0.5
	v_fmac_f64_e32 v[20:21], v[20:21], v[22:23]
	v_fma_f64 v[24:25], -v[20:21], v[20:21], v[14:15]
	v_fmac_f64_e32 v[16:17], v[16:17], v[22:23]
	v_fmac_f64_e32 v[20:21], v[24:25], v[16:17]
	v_fma_f64 v[22:23], -v[20:21], v[20:21], v[14:15]
	v_fmac_f64_e32 v[20:21], v[22:23], v[16:17]
	v_ldexp_f64 v[16:17], v[20:21], v1
	v_mov_b32_e32 v1, 0x260
	s_mov_b32 s1, 0x3fe98845
	v_cmp_class_f64_e32 vcc, v[14:15], v1
	v_mul_f64 v[18:19], v[18:19], s[0:1]
	s_nop 0
	v_cndmask_b32_e32 v15, v17, v15, vcc
	v_cndmask_b32_e32 v14, v16, v14, vcc
	v_div_scale_f64 v[16:17], s[0:1], v[14:15], v[14:15], v[18:19]
	v_rcp_f64_e32 v[20:21], v[16:17]
	s_nop 0
	v_fma_f64 v[22:23], -v[16:17], v[20:21], 1.0
	v_fmac_f64_e32 v[20:21], v[20:21], v[22:23]
	v_fma_f64 v[22:23], -v[16:17], v[20:21], 1.0
	v_fmac_f64_e32 v[20:21], v[20:21], v[22:23]
	v_div_scale_f64 v[22:23], vcc, v[18:19], v[14:15], v[18:19]
	v_mul_f64 v[24:25], v[22:23], v[20:21]
	v_fma_f64 v[16:17], -v[16:17], v[24:25], v[22:23]
	s_nop 1
	v_div_fmas_f64 v[16:17], v[16:17], v[20:21], v[24:25]
	v_div_fixup_f64 v[14:15], v[16:17], v[14:15], v[18:19]
.LBB7_106:
	s_or_b64 exec, exec, s[2:3]
	global_load_dwordx2 v[16:17], v12, s[6:7]
	s_mov_b32 s0, 0
	s_mov_b32 s1, 0x40140000
                                        ; implicit-def: $vgpr12_vgpr13
	s_waitcnt vmcnt(0)
	v_cmp_ge_f64_e32 vcc, s[0:1], v[16:17]
	s_and_saveexec_b64 s[0:1], vcc
	s_xor_b64 s[0:1], exec, s[0:1]
	s_cbranch_execz .LBB7_112
; %bb.107:
	v_mov_b32_e32 v12, 0
	v_cmp_neq_f64_e32 vcc, 0, v[16:17]
	v_mov_b32_e32 v13, 0xfff00000
	s_and_saveexec_b64 s[2:3], vcc
	s_cbranch_execz .LBB7_111
; %bb.108:
	v_mov_b32_e32 v12, 0
	v_cmp_nge_f64_e32 vcc, 0, v[16:17]
	v_mov_b32_e32 v13, 0x7ff80000
	s_and_saveexec_b64 s[8:9], vcc
	s_cbranch_execz .LBB7_110
; %bb.109:
	v_mul_f64 v[12:13], v[16:17], v[16:17]
	v_mov_b32_e32 v18, 0x62f9b6c5
	v_mov_b32_e32 v19, 0x41d2d2be
	v_fmac_f64_e32 v[18:19], 0, v[12:13]
	v_mov_b32_e32 v20, 0x58836521
	v_mov_b32_e32 v21, 0xc262d72d
	v_fmac_f64_e32 v[20:21], v[12:13], v[18:19]
	;; [unrolled: 3-line block ×14, first 2 shown]
	v_div_scale_f64 v[18:19], s[10:11], v[22:23], v[22:23], v[20:21]
	v_rcp_f64_e32 v[24:25], v[18:19]
	v_mov_b32_e32 v30, 0xd438c6b
	v_mov_b32_e32 v31, 0x425a52ba
	;; [unrolled: 1-line block ×3, first 2 shown]
	v_fma_f64 v[26:27], -v[18:19], v[24:25], 1.0
	v_fmac_f64_e32 v[24:25], v[24:25], v[26:27]
	v_fma_f64 v[26:27], -v[18:19], v[24:25], 1.0
	v_fmac_f64_e32 v[24:25], v[24:25], v[26:27]
	v_div_scale_f64 v[26:27], vcc, v[20:21], v[22:23], v[20:21]
	v_mul_f64 v[28:29], v[26:27], v[24:25]
	v_fma_f64 v[18:19], -v[18:19], v[28:29], v[26:27]
	v_mov_b32_e32 v26, 0x4cda4fc5
	v_mov_b32_e32 v27, 0xc1cad23c
	v_fmac_f64_e32 v[26:27], 0, v[12:13]
	v_fmac_f64_e32 v[30:31], v[12:13], v[26:27]
	v_mov_b32_e32 v26, 0xe6ccf175
	v_mov_b32_e32 v27, 0xc2d08a92
	v_fmac_f64_e32 v[26:27], v[12:13], v[30:31]
	v_mov_b32_e32 v30, 0x1b7086e7
	v_mov_b32_e32 v31, 0x408366b1
	v_fmac_f64_e32 v[30:31], 0, v[12:13]
	v_mov_b32_e32 v33, 0x410f5eda
	v_fmac_f64_e32 v[32:33], v[12:13], v[30:31]
	v_mov_b32_e32 v30, 0xdc92a1b1
	v_mov_b32_e32 v31, 0x4193e954
	v_fmac_f64_e32 v[30:31], v[12:13], v[32:33]
	v_mov_b32_e32 v32, 0x7befeac1
	;; [unrolled: 3-line block ×7, first 2 shown]
	v_mov_b32_e32 v31, 0x432a2b42
	v_fmac_f64_e32 v[30:31], v[12:13], v[26:27]
	v_div_scale_f64 v[12:13], s[10:11], v[32:33], v[32:33], v[30:31]
	v_rcp_f64_e32 v[26:27], v[12:13]
	v_div_fmas_f64 v[18:19], v[18:19], v[24:25], v[28:29]
	v_div_fixup_f64 v[18:19], v[18:19], v[22:23], v[20:21]
	s_mov_b32 s10, 0x55555555
	v_fma_f64 v[20:21], -v[12:13], v[26:27], 1.0
	v_fmac_f64_e32 v[26:27], v[26:27], v[20:21]
	v_fma_f64 v[20:21], -v[12:13], v[26:27], 1.0
	v_fmac_f64_e32 v[26:27], v[26:27], v[20:21]
	v_div_scale_f64 v[20:21], vcc, v[30:31], v[32:33], v[30:31]
	v_mul_f64 v[22:23], v[20:21], v[26:27]
	v_fma_f64 v[12:13], -v[12:13], v[22:23], v[20:21]
	v_mov_b32_e32 v20, 0x4189822c
	s_nop 0
	v_div_fmas_f64 v[12:13], v[12:13], v[26:27], v[22:23]
	v_div_fixup_f64 v[12:13], v[12:13], v[32:33], v[30:31]
	v_mov_b32_e32 v21, 0xc02d5d2b
	v_mul_f64 v[12:13], v[16:17], v[12:13]
	v_fmac_f64_e32 v[20:21], v[16:17], v[16:17]
	v_mul_f64 v[12:13], v[20:21], v[12:13]
	v_mov_b32_e32 v20, 0x6072a432
	v_mov_b32_e32 v21, 0xc0489bf6
	v_fmac_f64_e32 v[20:21], v[16:17], v[16:17]
	v_mul_f64 v[12:13], v[20:21], v[12:13]
	v_frexp_mant_f64_e32 v[20:21], v[16:17]
	s_mov_b32 s11, 0x3fe55555
	v_cmp_gt_f64_e32 vcc, s[10:11], v[20:21]
	s_mov_b32 s10, 0xbf559e2b
	s_mov_b32 s11, 0x3fc3ab76
	v_cndmask_b32_e64 v3, 0, 1, vcc
	v_ldexp_f64 v[20:21], v[20:21], v3
	v_add_f64 v[22:23], v[20:21], 1.0
	v_rcp_f64_e32 v[24:25], v[22:23]
	v_add_f64 v[28:29], v[22:23], -1.0
	v_add_f64 v[26:27], v[20:21], -1.0
	v_add_f64 v[20:21], v[20:21], -v[28:29]
	v_fma_f64 v[28:29], -v[22:23], v[24:25], 1.0
	v_fmac_f64_e32 v[24:25], v[28:29], v[24:25]
	v_fma_f64 v[28:29], -v[22:23], v[24:25], 1.0
	v_fmac_f64_e32 v[24:25], v[28:29], v[24:25]
	v_mul_f64 v[28:29], v[26:27], v[24:25]
	v_mul_f64 v[30:31], v[22:23], v[28:29]
	v_fma_f64 v[22:23], v[28:29], v[22:23], -v[30:31]
	v_fmac_f64_e32 v[22:23], v[28:29], v[20:21]
	v_add_f64 v[20:21], v[30:31], v[22:23]
	v_add_f64 v[32:33], v[26:27], -v[20:21]
	v_add_f64 v[30:31], v[20:21], -v[30:31]
	;; [unrolled: 1-line block ×5, first 2 shown]
	v_add_f64 v[20:21], v[22:23], v[20:21]
	v_add_f64 v[20:21], v[32:33], v[20:21]
	v_mul_f64 v[20:21], v[24:25], v[20:21]
	v_add_f64 v[22:23], v[28:29], v[20:21]
	v_add_f64 v[24:25], v[22:23], -v[28:29]
	v_add_f64 v[20:21], v[20:21], -v[24:25]
	v_mul_f64 v[24:25], v[22:23], v[22:23]
	v_mov_b32_e32 v26, 0x6b47b09a
	v_mov_b32_e32 v27, 0x3fc38538
	v_fmac_f64_e32 v[26:27], s[10:11], v[24:25]
	v_mov_b32_e32 v28, 0xd7f4df2e
	v_mov_b32_e32 v29, 0x3fc7474d
	v_fmac_f64_e32 v[28:29], v[24:25], v[26:27]
	;; [unrolled: 3-line block ×6, first 2 shown]
	v_ldexp_f64 v[26:27], v[22:23], 1
	v_mul_f64 v[22:23], v[22:23], v[24:25]
	v_mul_f64 v[22:23], v[22:23], v[28:29]
	v_add_f64 v[24:25], v[26:27], v[22:23]
	v_add_f64 v[26:27], v[24:25], -v[26:27]
	v_ldexp_f64 v[20:21], v[20:21], 1
	v_add_f64 v[22:23], v[22:23], -v[26:27]
	v_add_f64 v[20:21], v[20:21], v[22:23]
	v_frexp_exp_i32_f64_e32 v1, v[16:17]
	v_add_f64 v[22:23], v[24:25], v[20:21]
	v_subbrev_co_u32_e32 v1, vcc, 0, v1, vcc
	v_add_f64 v[24:25], v[22:23], -v[24:25]
	s_mov_b32 s10, 0xfefa39ef
	v_add_f64 v[20:21], v[20:21], -v[24:25]
	v_cvt_f64_i32_e32 v[24:25], v1
	s_mov_b32 s11, 0x3fe62e42
	v_mul_f64 v[26:27], v[24:25], s[10:11]
	v_fma_f64 v[28:29], v[24:25], s[10:11], -v[26:27]
	s_mov_b32 s10, 0x3b39803f
	s_mov_b32 s11, 0x3c7abc9e
	v_fmac_f64_e32 v[28:29], s[10:11], v[24:25]
	v_add_f64 v[24:25], v[26:27], v[28:29]
	v_add_f64 v[26:27], v[24:25], -v[26:27]
	v_add_f64 v[26:27], v[28:29], -v[26:27]
	v_add_f64 v[28:29], v[24:25], v[22:23]
	v_add_f64 v[30:31], v[28:29], -v[24:25]
	v_add_f64 v[32:33], v[28:29], -v[30:31]
	;; [unrolled: 1-line block ×4, first 2 shown]
	v_add_f64 v[22:23], v[22:23], v[24:25]
	v_add_f64 v[24:25], v[26:27], v[20:21]
	v_add_f64 v[30:31], v[24:25], -v[26:27]
	v_add_f64 v[32:33], v[24:25], -v[30:31]
	v_add_f64 v[22:23], v[24:25], v[22:23]
	v_add_f64 v[26:27], v[26:27], -v[32:33]
	v_add_f64 v[20:21], v[20:21], -v[30:31]
	v_add_f64 v[24:25], v[28:29], v[22:23]
	v_add_f64 v[20:21], v[20:21], v[26:27]
	v_add_f64 v[26:27], v[24:25], -v[28:29]
	v_div_scale_f64 v[28:29], s[10:11], v[16:17], v[16:17], -1.0
	v_rcp_f64_e32 v[30:31], v[28:29]
	v_add_f64 v[22:23], v[22:23], -v[26:27]
	v_add_f64 v[20:21], v[20:21], v[22:23]
	v_add_f64 v[20:21], v[24:25], v[20:21]
	v_fma_f64 v[22:23], -v[28:29], v[30:31], 1.0
	v_fmac_f64_e32 v[30:31], v[30:31], v[22:23]
	v_fma_f64 v[22:23], -v[28:29], v[30:31], 1.0
	v_fmac_f64_e32 v[30:31], v[30:31], v[22:23]
	v_div_scale_f64 v[22:23], vcc, -1.0, v[16:17], -1.0
	v_mul_f64 v[24:25], v[22:23], v[30:31]
	v_fma_f64 v[22:23], -v[28:29], v[24:25], v[22:23]
	s_mov_b32 s10, 0x6dc9c883
	s_nop 0
	v_div_fmas_f64 v[22:23], v[22:23], v[30:31], v[24:25]
	v_div_fixup_f64 v[22:23], v[22:23], v[16:17], -1.0
	v_fmac_f64_e32 v[22:23], v[12:13], v[20:21]
	s_mov_b32 s11, 0x3fe45f30
	v_mul_f64 v[12:13], v[22:23], s[10:11]
	v_fmac_f64_e32 v[12:13], v[16:17], v[18:19]
.LBB7_110:
	s_or_b64 exec, exec, s[8:9]
.LBB7_111:
	s_or_b64 exec, exec, s[2:3]
                                        ; implicit-def: $vgpr16_vgpr17
.LBB7_112:
	s_andn2_saveexec_b64 s[2:3], s[0:1]
	s_cbranch_execz .LBB7_122
; %bb.113:
	s_mov_b32 s0, 0x7f3321d2
	s_mov_b32 s1, 0xc002d97c
	v_add_f64 v[12:13], v[16:17], s[0:1]
	s_mov_b32 s0, 0
	s_mov_b32 s1, 0x41d00000
	v_cmp_nlt_f64_e64 s[8:9], |v[12:13]|, s[0:1]
	v_trig_preop_f64 v[30:31], |v[12:13]|, 0
	v_trig_preop_f64 v[28:29], |v[12:13]|, 1
	;; [unrolled: 1-line block ×3, first 2 shown]
                                        ; implicit-def: $vgpr1
                                        ; implicit-def: $vgpr18_vgpr19
                                        ; implicit-def: $vgpr20_vgpr21
	s_and_saveexec_b64 s[0:1], s[8:9]
	s_xor_b64 s[10:11], exec, s[0:1]
	s_cbranch_execz .LBB7_115
; %bb.114:
	s_mov_b32 s0, 0
	s_mov_b32 s1, 0x7b000000
	s_movk_i32 s12, 0xff80
	v_and_b32_e32 v1, 0x7fffffff, v13
	v_ldexp_f64 v[18:19], |v[12:13]|, s12
	v_cmp_ge_f64_e64 vcc, |v[12:13]|, s[0:1]
	s_mov_b32 s0, 0
	s_mov_b32 s1, 0x7ff00000
	v_cndmask_b32_e32 v19, v1, v19, vcc
	v_cndmask_b32_e32 v18, v12, v18, vcc
	v_mul_f64 v[22:23], v[30:31], v[18:19]
	v_mul_f64 v[20:21], v[28:29], v[18:19]
	v_fma_f64 v[24:25], v[30:31], v[18:19], -v[22:23]
	v_add_f64 v[32:33], v[20:21], v[24:25]
	v_add_f64 v[40:41], v[32:33], -v[20:21]
	v_add_f64 v[24:25], v[24:25], -v[40:41]
	;; [unrolled: 1-line block ×4, first 2 shown]
	v_add_f64 v[24:25], v[24:25], v[40:41]
	v_fma_f64 v[20:21], v[28:29], v[18:19], -v[20:21]
	v_mul_f64 v[40:41], v[26:27], v[18:19]
	v_add_f64 v[42:43], v[40:41], v[20:21]
	v_add_f64 v[34:35], v[22:23], v[32:33]
	;; [unrolled: 1-line block ×3, first 2 shown]
	v_ldexp_f64 v[36:37], v[34:35], -2
	v_add_f64 v[22:23], v[34:35], -v[22:23]
	v_add_f64 v[34:35], v[44:45], -v[42:43]
	;; [unrolled: 1-line block ×5, first 2 shown]
	v_add_f64 v[24:25], v[24:25], v[34:35]
	v_add_f64 v[34:35], v[42:43], -v[40:41]
	v_add_f64 v[20:21], v[20:21], -v[34:35]
	;; [unrolled: 1-line block ×5, first 2 shown]
	v_add_f64 v[20:21], v[20:21], v[34:35]
	v_fract_f64_e32 v[38:39], v[36:37]
	v_add_f64 v[32:33], v[22:23], v[44:45]
	v_add_f64 v[20:21], v[20:21], v[24:25]
	v_fma_f64 v[18:19], v[26:27], v[18:19], -v[40:41]
	v_add_f64 v[22:23], v[32:33], -v[22:23]
	v_add_f64 v[18:19], v[18:19], v[20:21]
	v_ldexp_f64 v[20:21], v[38:39], 2
	v_cmp_neq_f64_e64 vcc, |v[36:37]|, s[0:1]
	v_add_f64 v[22:23], v[44:45], -v[22:23]
	v_add_f64 v[18:19], v[22:23], v[18:19]
	v_cndmask_b32_e32 v21, 0, v21, vcc
	v_cndmask_b32_e32 v20, 0, v20, vcc
	v_add_f64 v[22:23], v[32:33], v[20:21]
	v_mov_b32_e32 v1, 0x40100000
	v_cmp_gt_f64_e32 vcc, 0, v[22:23]
	v_mov_b32_e32 v22, 0
	v_mov_b32_e32 v3, 0x3ff00000
	v_cndmask_b32_e32 v23, 0, v1, vcc
	v_add_f64 v[20:21], v[20:21], v[22:23]
	v_add_f64 v[24:25], v[32:33], v[20:21]
	v_cvt_i32_f64_e32 v1, v[24:25]
	v_cvt_f64_i32_e32 v[24:25], v1
	v_add_f64 v[20:21], v[20:21], -v[24:25]
	v_add_f64 v[24:25], v[32:33], v[20:21]
	v_add_f64 v[20:21], v[24:25], -v[20:21]
	v_cmp_le_f64_e32 vcc, 0.5, v[24:25]
	v_add_f64 v[20:21], v[32:33], -v[20:21]
	v_add_f64 v[18:19], v[18:19], v[20:21]
	v_cndmask_b32_e32 v23, 0, v3, vcc
	v_addc_co_u32_e64 v1, s[0:1], 0, v1, vcc
	v_add_f64 v[20:21], v[24:25], -v[22:23]
	v_add_f64 v[22:23], v[20:21], v[18:19]
	s_mov_b32 s0, 0x54442d18
	v_add_f64 v[20:21], v[22:23], -v[20:21]
	s_mov_b32 s1, 0x3ff921fb
	v_add_f64 v[18:19], v[18:19], -v[20:21]
	v_mul_f64 v[20:21], v[22:23], s[0:1]
	s_mov_b32 s12, 0x33145c07
	v_fma_f64 v[24:25], v[22:23], s[0:1], -v[20:21]
	s_mov_b32 s13, 0x3c91a626
	v_fmac_f64_e32 v[24:25], s[12:13], v[22:23]
	v_fmac_f64_e32 v[24:25], s[0:1], v[18:19]
	v_add_f64 v[18:19], v[20:21], v[24:25]
	v_add_f64 v[20:21], v[18:19], -v[20:21]
	v_add_f64 v[20:21], v[24:25], -v[20:21]
	s_andn2_saveexec_b64 s[0:1], s[10:11]
	s_cbranch_execz .LBB7_117
	s_branch .LBB7_116
.LBB7_115:
	s_andn2_saveexec_b64 s[0:1], s[10:11]
	s_cbranch_execz .LBB7_117
.LBB7_116:
	s_mov_b32 s10, 0x6dc9c883
	s_mov_b32 s11, 0x3fe45f30
	v_mul_f64 v[18:19], |v[12:13]|, s[10:11]
	s_mov_b32 s10, 0x54442d18
	v_rndne_f64_e32 v[22:23], v[18:19]
	s_mov_b32 s11, 0xbff921fb
	v_fma_f64 v[18:19], v[22:23], s[10:11], |v[12:13]|
	s_mov_b32 s11, 0xbc91a626
	s_mov_b32 s10, 0x33145c00
	v_mul_f64 v[24:25], v[22:23], s[10:11]
	v_add_f64 v[34:35], v[18:19], v[24:25]
	v_fma_f64 v[20:21], s[10:11], v[22:23], v[18:19]
	s_mov_b32 s11, 0x3c91a626
	v_add_f64 v[18:19], v[18:19], -v[34:35]
	v_fma_f64 v[32:33], s[10:11], v[22:23], v[24:25]
	v_add_f64 v[18:19], v[18:19], v[24:25]
	v_add_f64 v[24:25], v[34:35], -v[20:21]
	v_add_f64 v[18:19], v[24:25], v[18:19]
	s_mov_b32 s10, 0x252049c0
	v_add_f64 v[24:25], v[18:19], -v[32:33]
	s_mov_b32 s11, 0xb97b839a
	v_fmac_f64_e32 v[24:25], s[10:11], v[22:23]
	v_add_f64 v[18:19], v[20:21], v[24:25]
	v_add_f64 v[20:21], v[18:19], -v[20:21]
	v_add_f64 v[20:21], v[24:25], -v[20:21]
	v_cvt_i32_f64_e32 v1, v[22:23]
.LBB7_117:
	s_or_b64 exec, exec, s[0:1]
                                        ; implicit-def: $vgpr3
                                        ; implicit-def: $vgpr22_vgpr23
                                        ; implicit-def: $vgpr24_vgpr25
	s_and_saveexec_b64 s[0:1], s[8:9]
	s_xor_b64 s[8:9], exec, s[0:1]
	s_cbranch_execz .LBB7_119
; %bb.118:
	s_mov_b32 s0, 0
	s_mov_b32 s1, 0x7b000000
	s_movk_i32 s10, 0xff80
	v_and_b32_e32 v3, 0x7fffffff, v13
	v_ldexp_f64 v[22:23], |v[12:13]|, s10
	v_cmp_ge_f64_e64 vcc, |v[12:13]|, s[0:1]
	s_mov_b32 s0, 0
	s_mov_b32 s1, 0x7ff00000
	v_cndmask_b32_e32 v23, v3, v23, vcc
	v_cndmask_b32_e32 v22, v12, v22, vcc
	v_mul_f64 v[32:33], v[30:31], v[22:23]
	v_mul_f64 v[24:25], v[28:29], v[22:23]
	v_fma_f64 v[30:31], v[30:31], v[22:23], -v[32:33]
	v_add_f64 v[34:35], v[24:25], v[30:31]
	v_add_f64 v[42:43], v[34:35], -v[24:25]
	v_add_f64 v[30:31], v[30:31], -v[42:43]
	;; [unrolled: 1-line block ×4, first 2 shown]
	v_fma_f64 v[24:25], v[28:29], v[22:23], -v[24:25]
	v_mul_f64 v[28:29], v[26:27], v[22:23]
	v_add_f64 v[30:31], v[30:31], v[42:43]
	v_add_f64 v[42:43], v[28:29], v[24:25]
	;; [unrolled: 1-line block ×4, first 2 shown]
	v_ldexp_f64 v[38:39], v[36:37], -2
	v_add_f64 v[32:33], v[36:37], -v[32:33]
	v_add_f64 v[36:37], v[44:45], -v[42:43]
	;; [unrolled: 1-line block ×5, first 2 shown]
	v_add_f64 v[30:31], v[30:31], v[36:37]
	v_add_f64 v[36:37], v[42:43], -v[28:29]
	v_add_f64 v[24:25], v[24:25], -v[36:37]
	;; [unrolled: 1-line block ×4, first 2 shown]
	v_add_f64 v[24:25], v[24:25], v[36:37]
	v_fract_f64_e32 v[40:41], v[38:39]
	v_add_f64 v[24:25], v[24:25], v[30:31]
	v_fma_f64 v[22:23], v[26:27], v[22:23], -v[28:29]
	v_add_f64 v[32:33], v[34:35], -v[32:33]
	v_add_f64 v[22:23], v[22:23], v[24:25]
	v_ldexp_f64 v[24:25], v[40:41], 2
	v_cmp_neq_f64_e64 vcc, |v[38:39]|, s[0:1]
	v_add_f64 v[34:35], v[32:33], v[44:45]
	v_mov_b32_e32 v3, 0x40100000
	v_cndmask_b32_e32 v25, 0, v25, vcc
	v_cndmask_b32_e32 v24, 0, v24, vcc
	v_add_f64 v[26:27], v[34:35], v[24:25]
	v_cmp_gt_f64_e32 vcc, 0, v[26:27]
	v_mov_b32_e32 v26, 0
	v_add_f64 v[32:33], v[34:35], -v[32:33]
	v_cndmask_b32_e32 v27, 0, v3, vcc
	v_add_f64 v[24:25], v[24:25], v[26:27]
	v_add_f64 v[28:29], v[34:35], v[24:25]
	v_cvt_i32_f64_e32 v3, v[28:29]
	v_cvt_f64_i32_e32 v[28:29], v3
	v_add_f64 v[24:25], v[24:25], -v[28:29]
	v_add_f64 v[28:29], v[34:35], v[24:25]
	v_add_f64 v[32:33], v[44:45], -v[32:33]
	v_add_f64 v[24:25], v[28:29], -v[24:25]
	v_cmp_le_f64_e32 vcc, 0.5, v[28:29]
	v_mov_b32_e32 v5, 0x3ff00000
	v_add_f64 v[22:23], v[32:33], v[22:23]
	v_add_f64 v[24:25], v[34:35], -v[24:25]
	v_cndmask_b32_e32 v27, 0, v5, vcc
	v_add_f64 v[22:23], v[22:23], v[24:25]
	v_addc_co_u32_e64 v3, s[0:1], 0, v3, vcc
	v_add_f64 v[24:25], v[28:29], -v[26:27]
	v_add_f64 v[26:27], v[24:25], v[22:23]
	s_mov_b32 s0, 0x54442d18
	v_add_f64 v[24:25], v[26:27], -v[24:25]
	s_mov_b32 s1, 0x3ff921fb
	v_add_f64 v[22:23], v[22:23], -v[24:25]
	v_mul_f64 v[24:25], v[26:27], s[0:1]
	s_mov_b32 s10, 0x33145c07
	v_fma_f64 v[28:29], v[26:27], s[0:1], -v[24:25]
	s_mov_b32 s11, 0x3c91a626
	v_fmac_f64_e32 v[28:29], s[10:11], v[26:27]
	v_fmac_f64_e32 v[28:29], s[0:1], v[22:23]
	v_add_f64 v[22:23], v[24:25], v[28:29]
	v_add_f64 v[24:25], v[22:23], -v[24:25]
	v_add_f64 v[24:25], v[28:29], -v[24:25]
	s_andn2_saveexec_b64 s[0:1], s[8:9]
	s_cbranch_execnz .LBB7_120
	s_branch .LBB7_121
.LBB7_119:
	s_andn2_saveexec_b64 s[0:1], s[8:9]
	s_cbranch_execz .LBB7_121
.LBB7_120:
	s_mov_b32 s8, 0x6dc9c883
	s_mov_b32 s9, 0x3fe45f30
	v_mul_f64 v[22:23], |v[12:13]|, s[8:9]
	s_mov_b32 s8, 0x54442d18
	v_rndne_f64_e32 v[26:27], v[22:23]
	s_mov_b32 s9, 0xbff921fb
	v_fma_f64 v[22:23], v[26:27], s[8:9], |v[12:13]|
	s_mov_b32 s9, 0xbc91a626
	s_mov_b32 s8, 0x33145c00
	v_mul_f64 v[28:29], v[26:27], s[8:9]
	v_add_f64 v[32:33], v[22:23], v[28:29]
	v_fma_f64 v[24:25], s[8:9], v[26:27], v[22:23]
	s_mov_b32 s9, 0x3c91a626
	v_add_f64 v[22:23], v[22:23], -v[32:33]
	v_fma_f64 v[30:31], s[8:9], v[26:27], v[28:29]
	v_add_f64 v[22:23], v[22:23], v[28:29]
	v_add_f64 v[28:29], v[32:33], -v[24:25]
	v_add_f64 v[22:23], v[28:29], v[22:23]
	s_mov_b32 s8, 0x252049c0
	v_add_f64 v[28:29], v[22:23], -v[30:31]
	s_mov_b32 s9, 0xb97b839a
	v_fmac_f64_e32 v[28:29], s[8:9], v[26:27]
	v_add_f64 v[22:23], v[24:25], v[28:29]
	v_add_f64 v[24:25], v[22:23], -v[24:25]
	v_add_f64 v[24:25], v[28:29], -v[24:25]
	v_cvt_i32_f64_e32 v3, v[26:27]
.LBB7_121:
	s_or_b64 exec, exec, s[0:1]
	s_mov_b32 s0, 0
	s_mov_b32 s1, 0x40140000
	v_div_scale_f64 v[26:27], s[8:9], v[16:17], v[16:17], s[0:1]
	v_rcp_f64_e32 v[28:29], v[26:27]
	v_mov_b32_e32 v34, 0x5948aa83
	v_mov_b32_e32 v35, 0x3fb19fdd
	v_mov_b32_e32 v36, 0xc66d8fd6
	v_fma_f64 v[30:31], -v[26:27], v[28:29], 1.0
	v_fmac_f64_e32 v[28:29], v[28:29], v[30:31]
	v_fma_f64 v[30:31], -v[26:27], v[28:29], 1.0
	v_fmac_f64_e32 v[28:29], v[28:29], v[30:31]
	v_div_scale_f64 v[30:31], vcc, s[0:1], v[16:17], s[0:1]
	v_mul_f64 v[32:33], v[30:31], v[28:29]
	v_fma_f64 v[26:27], -v[26:27], v[32:33], v[30:31]
	v_mov_b32_e32 v37, 0x4013edb5
	s_nop 0
	v_div_fmas_f64 v[26:27], v[26:27], v[28:29], v[32:33]
	v_div_fixup_f64 v[26:27], v[26:27], v[16:17], s[0:1]
	v_mul_f64 v[30:31], v[26:27], v[26:27]
	v_mov_b32_e32 v28, 0x4c6c651b
	v_mov_b32_e32 v29, 0x3f48f92c
	v_fmac_f64_e32 v[28:29], 0, v[30:31]
	v_mov_b32_e32 v32, 0xa3fec4b6
	v_mov_b32_e32 v33, 0x3fb2b948
	v_fmac_f64_e32 v[32:33], v[30:31], v[28:29]
	;; [unrolled: 3-line block ×7, first 2 shown]
	v_fmac_f64_e32 v[34:35], v[30:31], v[28:29]
	v_mov_b32_e32 v28, 0xb850eed6
	v_mov_b32_e32 v29, 0x3ff1aea9
	v_fmac_f64_e32 v[28:29], v[30:31], v[34:35]
	v_mov_b32_e32 v34, 0xf7d251a1
	v_mov_b32_e32 v35, 0x40144ba2
	;; [unrolled: 3-line block ×5, first 2 shown]
	v_fmac_f64_e32 v[28:29], 0, v[30:31]
	v_fmac_f64_e32 v[36:37], v[30:31], v[28:29]
	v_mov_b32_e32 v28, 0x9acf1c67
	v_mov_b32_e32 v29, 0x4052f4b9
	v_fmac_f64_e32 v[28:29], v[30:31], v[36:37]
	v_mov_b32_e32 v36, 0x47aa180d
	v_mov_b32_e32 v37, 0x4076ec79
	;; [unrolled: 3-line block ×6, first 2 shown]
	v_mov_b32_e32 v36, 0x60895077
	v_mov_b32_e32 v37, 0x40528f30
	v_fmac_f64_e32 v[28:29], v[30:31], v[38:39]
	v_fmac_f64_e32 v[36:37], 0, v[30:31]
	v_mov_b32_e32 v38, 0xa20e5f6f
	v_mov_b32_e32 v39, 0x409081cb
	v_fmac_f64_e32 v[38:39], v[30:31], v[36:37]
	v_mov_b32_e32 v36, 0x1bfdfe81
	v_mov_b32_e32 v37, 0x40b37a69
	;; [unrolled: 3-line block ×5, first 2 shown]
	v_fma_f64 v[34:35], v[30:31], v[34:35], 1.0
	v_fmac_f64_e32 v[38:39], v[30:31], v[36:37]
	v_fma_f64 v[36:37], v[30:31], v[32:33], 1.0
	v_div_scale_f64 v[40:41], s[0:1], v[34:35], v[34:35], v[36:37]
	v_rcp_f64_e32 v[42:43], v[40:41]
	v_mov_b32_e32 v32, 0x6ae75997
	v_mov_b32_e32 v33, 0x4075017f
	v_fmac_f64_e32 v[32:33], v[30:31], v[38:39]
	v_fma_f64 v[30:31], -v[40:41], v[42:43], 1.0
	v_fmac_f64_e32 v[42:43], v[42:43], v[30:31]
	v_fma_f64 v[30:31], -v[40:41], v[42:43], 1.0
	v_fmac_f64_e32 v[42:43], v[42:43], v[30:31]
	v_div_scale_f64 v[30:31], vcc, v[36:37], v[34:35], v[36:37]
	v_mul_f64 v[38:39], v[30:31], v[42:43]
	v_fma_f64 v[30:31], -v[40:41], v[38:39], v[30:31]
	s_mov_b32 s0, 0x9037ab78
	s_nop 0
	v_div_fmas_f64 v[30:31], v[30:31], v[42:43], v[38:39]
	s_mov_b32 s1, 0x3e21eeb6
	s_mov_b32 s8, 0x46cc5e42
	v_div_fixup_f64 v[30:31], v[30:31], v[34:35], v[36:37]
	v_mul_f64 v[34:35], v[18:19], v[18:19]
	s_mov_b32 s9, 0xbda907db
	v_mov_b64_e32 v[42:43], s[0:1]
	s_mov_b32 s10, 0xa17f65f6
	v_mul_f64 v[36:37], v[34:35], 0.5
	v_fma_f64 v[44:45], s[8:9], v[34:35], v[42:43]
	s_mov_b32 s11, 0xbe927e4f
	s_mov_b32 s12, 0x19f4ec90
	v_add_f64 v[38:39], -v[36:37], 1.0
	v_fma_f64 v[44:45], v[34:35], v[44:45], s[10:11]
	s_mov_b32 s13, 0x3efa01a0
	s_mov_b32 s14, 0x16c16967
	v_add_f64 v[40:41], -v[38:39], 1.0
	v_fma_f64 v[44:45], v[34:35], v[44:45], s[12:13]
	s_mov_b32 s15, 0xbf56c16c
	s_mov_b32 s16, 0x55555555
	v_add_f64 v[36:37], v[40:41], -v[36:37]
	v_fma_f64 v[44:45], v[34:35], v[44:45], s[14:15]
	s_mov_b32 s17, 0x3fa55555
	v_mul_f64 v[40:41], v[34:35], v[34:35]
	v_fma_f64 v[44:45], v[34:35], v[44:45], s[16:17]
	v_fma_f64 v[36:37], v[18:19], -v[20:21], v[36:37]
	s_mov_b32 s0, 0xb42fdfa7
	v_fmac_f64_e32 v[36:37], v[40:41], v[44:45]
	s_mov_b32 s1, 0xbe5ae600
	s_mov_b32 s18, 0xf9a43bb8
	v_add_f64 v[36:37], v[38:39], v[36:37]
	s_mov_b32 s19, 0x3de5e0b2
	v_mov_b64_e32 v[38:39], s[0:1]
	s_mov_b32 s20, 0x796cde01
	v_fma_f64 v[40:41], s[18:19], v[34:35], v[38:39]
	s_mov_b32 s21, 0x3ec71de3
	s_mov_b32 s22, 0x19e83e5c
	v_fma_f64 v[40:41], v[34:35], v[40:41], s[20:21]
	s_mov_b32 s23, 0xbf2a01a0
	;; [unrolled: 3-line block ×3, first 2 shown]
	v_fma_f64 v[40:41], v[34:35], v[40:41], s[24:25]
	v_mul_f64 v[44:45], v[18:19], -v[34:35]
	v_mul_f64 v[46:47], v[20:21], 0.5
	v_fmac_f64_e32 v[46:47], v[44:45], v[40:41]
	v_fma_f64 v[20:21], v[34:35], v[46:47], -v[20:21]
	s_mov_b32 s27, 0xbfc55555
	s_mov_b32 s26, s16
	v_fmac_f64_e32 v[20:21], s[26:27], v[44:45]
	v_and_b32_e32 v5, 1, v1
	v_add_f64 v[18:19], v[18:19], -v[20:21]
	v_cmp_eq_u32_e32 vcc, 0, v5
	v_lshlrev_b32_e32 v1, 30, v1
	s_movk_i32 s29, 0x1f8
	v_cndmask_b32_e32 v5, v36, v18, vcc
	v_cndmask_b32_e32 v7, v37, v19, vcc
	v_div_scale_f64 v[18:19], s[0:1], v[32:33], v[32:33], v[28:29]
	v_rcp_f64_e32 v[20:21], v[18:19]
	v_xor_b32_e32 v1, v1, v13
	s_brev_b32 s28, 1
	v_cmp_class_f64_e64 s[0:1], v[12:13], s29
	v_fma_f64 v[34:35], -v[18:19], v[20:21], 1.0
	v_fmac_f64_e32 v[20:21], v[20:21], v[34:35]
	v_fma_f64 v[34:35], -v[18:19], v[20:21], 1.0
	v_fmac_f64_e32 v[20:21], v[20:21], v[34:35]
	v_div_scale_f64 v[34:35], vcc, v[28:29], v[32:33], v[28:29]
	v_mul_f64 v[36:37], v[34:35], v[20:21]
	v_fma_f64 v[18:19], -v[18:19], v[36:37], v[34:35]
	v_bitop3_b32 v1, v7, v1, s28 bitop3:0x78
	s_nop 0
	v_div_fmas_f64 v[18:19], v[18:19], v[20:21], v[36:37]
	v_div_fixup_f64 v[18:19], v[18:19], v[32:33], v[28:29]
	v_mul_f64 v[20:21], v[22:23], v[22:23]
	v_mul_f64 v[18:19], v[26:27], v[18:19]
	v_mul_f64 v[26:27], v[20:21], 0.5
	v_fmac_f64_e32 v[42:43], s[8:9], v[20:21]
	v_add_f64 v[28:29], -v[26:27], 1.0
	v_fma_f64 v[34:35], v[20:21], v[42:43], s[10:11]
	v_add_f64 v[32:33], -v[28:29], 1.0
	v_fma_f64 v[34:35], v[20:21], v[34:35], s[12:13]
	v_add_f64 v[26:27], v[32:33], -v[26:27]
	v_fma_f64 v[34:35], v[20:21], v[34:35], s[14:15]
	v_mul_f64 v[32:33], v[20:21], v[20:21]
	v_fma_f64 v[34:35], v[20:21], v[34:35], s[16:17]
	v_fma_f64 v[26:27], v[22:23], -v[24:25], v[26:27]
	v_fmac_f64_e32 v[26:27], v[32:33], v[34:35]
	v_fmac_f64_e32 v[38:39], s[18:19], v[20:21]
	v_add_f64 v[26:27], v[28:29], v[26:27]
	v_fma_f64 v[28:29], v[20:21], v[38:39], s[20:21]
	v_fma_f64 v[28:29], v[20:21], v[28:29], s[22:23]
	;; [unrolled: 1-line block ×3, first 2 shown]
	v_mul_f64 v[32:33], v[22:23], -v[20:21]
	v_mul_f64 v[34:35], v[24:25], 0.5
	v_fmac_f64_e32 v[34:35], v[32:33], v[28:29]
	v_fma_f64 v[20:21], v[20:21], v[34:35], -v[24:25]
	v_fmac_f64_e32 v[20:21], s[26:27], v[32:33]
	v_cndmask_b32_e64 v12, 0, v5, s[0:1]
	v_mov_b32_e32 v5, 0x7ff80000
	v_add_f64 v[20:21], v[22:23], -v[20:21]
	v_and_b32_e32 v7, 1, v3
	v_cndmask_b32_e64 v13, v5, v1, s[0:1]
	v_xor_b32_e32 v1, 0x80000000, v21
	v_cmp_eq_u32_e32 vcc, 0, v7
	v_lshlrev_b32_e32 v3, 30, v3
	s_nop 0
	v_cndmask_b32_e32 v1, v1, v27, vcc
	v_cndmask_b32_e32 v7, v20, v26, vcc
	v_bitop3_b32 v1, v1, v3, s28 bitop3:0x78
	v_cndmask_b32_e64 v20, 0, v7, s[0:1]
	v_cndmask_b32_e64 v21, v5, v1, s[0:1]
	s_mov_b32 s0, 0
	s_brev_b32 s1, 8
	v_mov_b32_e32 v1, 0x100
	v_cmp_gt_f64_e32 vcc, s[0:1], v[16:17]
	v_mul_f64 v[18:19], v[18:19], v[20:21]
	v_fmac_f64_e32 v[18:19], v[30:31], v[12:13]
	v_cndmask_b32_e32 v1, 0, v1, vcc
	v_ldexp_f64 v[12:13], v[16:17], v1
	v_rsq_f64_e32 v[16:17], v[12:13]
	v_mov_b32_e32 v1, 0xffffff80
	v_cndmask_b32_e32 v1, 0, v1, vcc
	s_mov_b32 s0, 0x33d43651
	v_mul_f64 v[20:21], v[12:13], v[16:17]
	v_mul_f64 v[16:17], v[16:17], 0.5
	v_fma_f64 v[22:23], -v[16:17], v[20:21], 0.5
	v_fmac_f64_e32 v[20:21], v[20:21], v[22:23]
	v_fma_f64 v[24:25], -v[20:21], v[20:21], v[12:13]
	v_fmac_f64_e32 v[16:17], v[16:17], v[22:23]
	v_fmac_f64_e32 v[20:21], v[24:25], v[16:17]
	v_fma_f64 v[22:23], -v[20:21], v[20:21], v[12:13]
	v_fmac_f64_e32 v[20:21], v[22:23], v[16:17]
	v_ldexp_f64 v[16:17], v[20:21], v1
	v_mov_b32_e32 v1, 0x260
	s_mov_b32 s1, 0x3fe98845
	v_cmp_class_f64_e32 vcc, v[12:13], v1
	v_mul_f64 v[18:19], v[18:19], s[0:1]
	s_nop 0
	v_cndmask_b32_e32 v13, v17, v13, vcc
	v_cndmask_b32_e32 v12, v16, v12, vcc
	v_div_scale_f64 v[16:17], s[0:1], v[12:13], v[12:13], v[18:19]
	v_rcp_f64_e32 v[20:21], v[16:17]
	s_nop 0
	v_fma_f64 v[22:23], -v[16:17], v[20:21], 1.0
	v_fmac_f64_e32 v[20:21], v[20:21], v[22:23]
	v_fma_f64 v[22:23], -v[16:17], v[20:21], 1.0
	v_fmac_f64_e32 v[20:21], v[20:21], v[22:23]
	v_div_scale_f64 v[22:23], vcc, v[18:19], v[12:13], v[18:19]
	v_mul_f64 v[24:25], v[22:23], v[20:21]
	v_fma_f64 v[16:17], -v[16:17], v[24:25], v[22:23]
	s_nop 1
	v_div_fmas_f64 v[16:17], v[16:17], v[20:21], v[24:25]
	v_div_fixup_f64 v[12:13], v[16:17], v[12:13], v[18:19]
.LBB7_122:
	s_or_b64 exec, exec, s[2:3]
	global_load_dwordx2 v[8:9], v8, s[6:7]
	s_mov_b32 s0, 0
	s_mov_b32 s1, 0x40140000
                                        ; implicit-def: $vgpr18_vgpr19
	s_waitcnt vmcnt(0)
	v_cmp_ge_f64_e32 vcc, s[0:1], v[8:9]
	s_and_saveexec_b64 s[0:1], vcc
	s_xor_b64 s[0:1], exec, s[0:1]
	s_cbranch_execz .LBB7_128
; %bb.123:
	v_mov_b32_e32 v18, 0
	v_cmp_neq_f64_e32 vcc, 0, v[8:9]
	v_mov_b32_e32 v19, 0xfff00000
	s_and_saveexec_b64 s[2:3], vcc
	s_cbranch_execz .LBB7_127
; %bb.124:
	v_mov_b32_e32 v18, 0
	v_cmp_nge_f64_e32 vcc, 0, v[8:9]
	v_mov_b32_e32 v19, 0x7ff80000
	s_and_saveexec_b64 s[6:7], vcc
	s_cbranch_execz .LBB7_126
; %bb.125:
	v_mul_f64 v[16:17], v[8:9], v[8:9]
	v_mov_b32_e32 v18, 0x62f9b6c5
	v_mov_b32_e32 v19, 0x41d2d2be
	v_fmac_f64_e32 v[18:19], 0, v[16:17]
	v_mov_b32_e32 v20, 0x58836521
	v_mov_b32_e32 v21, 0xc262d72d
	v_fmac_f64_e32 v[20:21], v[16:17], v[18:19]
	v_mov_b32_e32 v18, 0xb0910fef
	v_mov_b32_e32 v19, 0x42da0954
	v_fmac_f64_e32 v[18:19], v[16:17], v[20:21]
	v_mov_b32_e32 v20, 0x37a1b083
	v_mov_b32_e32 v21, 0xc33ce01a
	v_fmac_f64_e32 v[20:21], v[16:17], v[18:19]
	v_mov_b32_e32 v18, 0xb7366b1
	v_mov_b32_e32 v19, 0x438679ad
	v_fmac_f64_e32 v[18:19], v[16:17], v[20:21]
	v_mov_b32_e32 v20, 0xa93f7ac2
	v_mov_b32_e32 v21, 0x40829269
	v_fmac_f64_e32 v[20:21], 0, v[16:17]
	v_mov_b32_e32 v22, 0xbe58ef7f
	v_mov_b32_e32 v23, 0x410cc160
	v_fmac_f64_e32 v[22:23], v[16:17], v[20:21]
	v_mov_b32_e32 v20, 0xa9c8acee
	v_mov_b32_e32 v21, 0x419184ef
	v_fmac_f64_e32 v[20:21], v[16:17], v[22:23]
	v_mov_b32_e32 v22, 0x906b7b83
	v_mov_b32_e32 v23, 0x421178c3
	v_fmac_f64_e32 v[22:23], v[16:17], v[20:21]
	v_mov_b32_e32 v20, 0xfda99316
	v_mov_b32_e32 v21, 0x428c3f5e
	v_fmac_f64_e32 v[20:21], v[16:17], v[22:23]
	v_mov_b32_e32 v22, 0xd71d1e4e
	v_mov_b32_e32 v23, 0x4301a326
	v_fmac_f64_e32 v[22:23], v[16:17], v[20:21]
	v_mov_b32_e32 v20, 0xc547a488
	v_mov_b32_e32 v21, 0x436e83e3
	v_fmac_f64_e32 v[20:21], v[16:17], v[22:23]
	v_mov_b32_e32 v22, 0x90f6747f
	v_mov_b32_e32 v23, 0x43cb90f1
	v_fmac_f64_e32 v[22:23], v[16:17], v[20:21]
	v_mov_b32_e32 v20, 0x5dde2b17
	v_mov_b32_e32 v21, 0xc3a59e41
	v_fmac_f64_e32 v[20:21], v[16:17], v[18:19]
	v_div_scale_f64 v[18:19], s[8:9], v[22:23], v[22:23], v[20:21]
	v_rcp_f64_e32 v[24:25], v[18:19]
	v_mov_b32_e32 v30, 0xd438c6b
	v_mov_b32_e32 v31, 0x425a52ba
	;; [unrolled: 1-line block ×3, first 2 shown]
	v_fma_f64 v[26:27], -v[18:19], v[24:25], 1.0
	v_fmac_f64_e32 v[24:25], v[24:25], v[26:27]
	v_fma_f64 v[26:27], -v[18:19], v[24:25], 1.0
	v_fmac_f64_e32 v[24:25], v[24:25], v[26:27]
	v_div_scale_f64 v[26:27], vcc, v[20:21], v[22:23], v[20:21]
	v_mul_f64 v[28:29], v[26:27], v[24:25]
	v_fma_f64 v[18:19], -v[18:19], v[28:29], v[26:27]
	v_mov_b32_e32 v26, 0x4cda4fc5
	v_mov_b32_e32 v27, 0xc1cad23c
	v_fmac_f64_e32 v[26:27], 0, v[16:17]
	v_fmac_f64_e32 v[30:31], v[16:17], v[26:27]
	v_mov_b32_e32 v26, 0xe6ccf175
	v_mov_b32_e32 v27, 0xc2d08a92
	v_fmac_f64_e32 v[26:27], v[16:17], v[30:31]
	v_mov_b32_e32 v30, 0x1b7086e7
	v_mov_b32_e32 v31, 0x408366b1
	v_fmac_f64_e32 v[30:31], 0, v[16:17]
	v_mov_b32_e32 v33, 0x410f5eda
	v_fmac_f64_e32 v[32:33], v[16:17], v[30:31]
	v_mov_b32_e32 v30, 0xdc92a1b1
	v_mov_b32_e32 v31, 0x4193e954
	v_fmac_f64_e32 v[30:31], v[16:17], v[32:33]
	v_mov_b32_e32 v32, 0x7befeac1
	;; [unrolled: 3-line block ×7, first 2 shown]
	v_mov_b32_e32 v31, 0x432a2b42
	v_fmac_f64_e32 v[30:31], v[16:17], v[26:27]
	v_div_scale_f64 v[26:27], s[8:9], v[32:33], v[32:33], v[30:31]
	v_rcp_f64_e32 v[34:35], v[26:27]
	v_div_fmas_f64 v[16:17], v[18:19], v[24:25], v[28:29]
	v_div_fixup_f64 v[16:17], v[16:17], v[22:23], v[20:21]
	s_mov_b32 s8, 0x55555555
	v_fma_f64 v[18:19], -v[26:27], v[34:35], 1.0
	v_fmac_f64_e32 v[34:35], v[34:35], v[18:19]
	v_fma_f64 v[18:19], -v[26:27], v[34:35], 1.0
	v_fmac_f64_e32 v[34:35], v[34:35], v[18:19]
	v_div_scale_f64 v[18:19], vcc, v[30:31], v[32:33], v[30:31]
	v_mul_f64 v[20:21], v[18:19], v[34:35]
	v_fma_f64 v[18:19], -v[26:27], v[20:21], v[18:19]
	s_mov_b32 s9, 0x3fe55555
	s_nop 0
	v_div_fmas_f64 v[18:19], v[18:19], v[34:35], v[20:21]
	v_div_fixup_f64 v[18:19], v[18:19], v[32:33], v[30:31]
	v_mov_b32_e32 v20, 0x4189822c
	v_mov_b32_e32 v21, 0xc02d5d2b
	v_mul_f64 v[18:19], v[8:9], v[18:19]
	v_fmac_f64_e32 v[20:21], v[8:9], v[8:9]
	v_mul_f64 v[18:19], v[20:21], v[18:19]
	v_mov_b32_e32 v20, 0x6072a432
	v_mov_b32_e32 v21, 0xc0489bf6
	v_fmac_f64_e32 v[20:21], v[8:9], v[8:9]
	v_mul_f64 v[18:19], v[20:21], v[18:19]
	v_frexp_mant_f64_e32 v[20:21], v[8:9]
	v_cmp_gt_f64_e32 vcc, s[8:9], v[20:21]
	s_mov_b32 s8, 0xbf559e2b
	s_mov_b32 s9, 0x3fc3ab76
	v_cndmask_b32_e64 v3, 0, 1, vcc
	v_ldexp_f64 v[20:21], v[20:21], v3
	v_add_f64 v[22:23], v[20:21], 1.0
	v_rcp_f64_e32 v[24:25], v[22:23]
	v_add_f64 v[28:29], v[22:23], -1.0
	v_add_f64 v[26:27], v[20:21], -1.0
	v_add_f64 v[20:21], v[20:21], -v[28:29]
	v_fma_f64 v[28:29], -v[22:23], v[24:25], 1.0
	v_fmac_f64_e32 v[24:25], v[28:29], v[24:25]
	v_fma_f64 v[28:29], -v[22:23], v[24:25], 1.0
	v_fmac_f64_e32 v[24:25], v[28:29], v[24:25]
	v_mul_f64 v[28:29], v[26:27], v[24:25]
	v_mul_f64 v[30:31], v[22:23], v[28:29]
	v_fma_f64 v[22:23], v[28:29], v[22:23], -v[30:31]
	v_fmac_f64_e32 v[22:23], v[28:29], v[20:21]
	v_add_f64 v[20:21], v[30:31], v[22:23]
	v_add_f64 v[32:33], v[26:27], -v[20:21]
	v_add_f64 v[30:31], v[20:21], -v[30:31]
	;; [unrolled: 1-line block ×5, first 2 shown]
	v_add_f64 v[20:21], v[22:23], v[20:21]
	v_add_f64 v[20:21], v[32:33], v[20:21]
	v_mul_f64 v[20:21], v[24:25], v[20:21]
	v_add_f64 v[22:23], v[28:29], v[20:21]
	v_add_f64 v[24:25], v[22:23], -v[28:29]
	v_add_f64 v[20:21], v[20:21], -v[24:25]
	v_mul_f64 v[24:25], v[22:23], v[22:23]
	v_mov_b32_e32 v26, 0x6b47b09a
	v_mov_b32_e32 v27, 0x3fc38538
	v_fmac_f64_e32 v[26:27], s[8:9], v[24:25]
	v_mov_b32_e32 v28, 0xd7f4df2e
	v_mov_b32_e32 v29, 0x3fc7474d
	v_fmac_f64_e32 v[28:29], v[24:25], v[26:27]
	;; [unrolled: 3-line block ×6, first 2 shown]
	v_ldexp_f64 v[26:27], v[22:23], 1
	v_mul_f64 v[22:23], v[22:23], v[24:25]
	v_mul_f64 v[22:23], v[22:23], v[28:29]
	v_add_f64 v[24:25], v[26:27], v[22:23]
	v_add_f64 v[26:27], v[24:25], -v[26:27]
	v_ldexp_f64 v[20:21], v[20:21], 1
	v_add_f64 v[22:23], v[22:23], -v[26:27]
	v_add_f64 v[20:21], v[20:21], v[22:23]
	v_frexp_exp_i32_f64_e32 v1, v[8:9]
	v_add_f64 v[22:23], v[24:25], v[20:21]
	v_subbrev_co_u32_e32 v1, vcc, 0, v1, vcc
	v_add_f64 v[24:25], v[22:23], -v[24:25]
	s_mov_b32 s8, 0xfefa39ef
	v_add_f64 v[20:21], v[20:21], -v[24:25]
	v_cvt_f64_i32_e32 v[24:25], v1
	s_mov_b32 s9, 0x3fe62e42
	v_mul_f64 v[26:27], v[24:25], s[8:9]
	v_fma_f64 v[28:29], v[24:25], s[8:9], -v[26:27]
	s_mov_b32 s8, 0x3b39803f
	s_mov_b32 s9, 0x3c7abc9e
	v_fmac_f64_e32 v[28:29], s[8:9], v[24:25]
	v_add_f64 v[24:25], v[26:27], v[28:29]
	v_add_f64 v[26:27], v[24:25], -v[26:27]
	v_add_f64 v[26:27], v[28:29], -v[26:27]
	v_add_f64 v[28:29], v[24:25], v[22:23]
	v_add_f64 v[30:31], v[28:29], -v[24:25]
	v_add_f64 v[32:33], v[28:29], -v[30:31]
	;; [unrolled: 1-line block ×4, first 2 shown]
	v_add_f64 v[22:23], v[22:23], v[24:25]
	v_add_f64 v[24:25], v[26:27], v[20:21]
	v_add_f64 v[30:31], v[24:25], -v[26:27]
	v_add_f64 v[32:33], v[24:25], -v[30:31]
	v_add_f64 v[22:23], v[24:25], v[22:23]
	v_add_f64 v[26:27], v[26:27], -v[32:33]
	v_add_f64 v[20:21], v[20:21], -v[30:31]
	v_add_f64 v[24:25], v[28:29], v[22:23]
	v_add_f64 v[20:21], v[20:21], v[26:27]
	v_add_f64 v[26:27], v[24:25], -v[28:29]
	v_div_scale_f64 v[28:29], s[8:9], v[8:9], v[8:9], -1.0
	v_rcp_f64_e32 v[30:31], v[28:29]
	v_add_f64 v[22:23], v[22:23], -v[26:27]
	v_add_f64 v[20:21], v[20:21], v[22:23]
	v_add_f64 v[20:21], v[24:25], v[20:21]
	v_fma_f64 v[22:23], -v[28:29], v[30:31], 1.0
	v_fmac_f64_e32 v[30:31], v[30:31], v[22:23]
	v_fma_f64 v[22:23], -v[28:29], v[30:31], 1.0
	v_fmac_f64_e32 v[30:31], v[30:31], v[22:23]
	v_div_scale_f64 v[22:23], vcc, -1.0, v[8:9], -1.0
	v_mul_f64 v[24:25], v[22:23], v[30:31]
	v_fma_f64 v[22:23], -v[28:29], v[24:25], v[22:23]
	s_mov_b32 s8, 0x6dc9c883
	s_nop 0
	v_div_fmas_f64 v[22:23], v[22:23], v[30:31], v[24:25]
	v_div_fixup_f64 v[22:23], v[22:23], v[8:9], -1.0
	v_fmac_f64_e32 v[22:23], v[18:19], v[20:21]
	s_mov_b32 s9, 0x3fe45f30
	v_mul_f64 v[18:19], v[22:23], s[8:9]
	v_fmac_f64_e32 v[18:19], v[8:9], v[16:17]
.LBB7_126:
	s_or_b64 exec, exec, s[6:7]
.LBB7_127:
	s_or_b64 exec, exec, s[2:3]
                                        ; implicit-def: $vgpr8_vgpr9
.LBB7_128:
	s_andn2_saveexec_b64 s[2:3], s[0:1]
	s_cbranch_execz .LBB7_138
; %bb.129:
	s_mov_b32 s0, 0x7f3321d2
	s_mov_b32 s1, 0xc002d97c
	v_add_f64 v[16:17], v[8:9], s[0:1]
	s_mov_b32 s0, 0
	s_mov_b32 s1, 0x41d00000
	v_cmp_nlt_f64_e64 s[6:7], |v[16:17]|, s[0:1]
	v_trig_preop_f64 v[30:31], |v[16:17]|, 0
	v_trig_preop_f64 v[28:29], |v[16:17]|, 1
	;; [unrolled: 1-line block ×3, first 2 shown]
                                        ; implicit-def: $vgpr1
                                        ; implicit-def: $vgpr18_vgpr19
                                        ; implicit-def: $vgpr20_vgpr21
	s_and_saveexec_b64 s[0:1], s[6:7]
	s_xor_b64 s[8:9], exec, s[0:1]
	s_cbranch_execz .LBB7_131
; %bb.130:
	s_mov_b32 s0, 0
	s_mov_b32 s1, 0x7b000000
	s_movk_i32 s10, 0xff80
	v_and_b32_e32 v1, 0x7fffffff, v17
	v_ldexp_f64 v[18:19], |v[16:17]|, s10
	v_cmp_ge_f64_e64 vcc, |v[16:17]|, s[0:1]
	s_mov_b32 s0, 0
	s_mov_b32 s1, 0x7ff00000
	v_cndmask_b32_e32 v19, v1, v19, vcc
	v_cndmask_b32_e32 v18, v16, v18, vcc
	v_mul_f64 v[22:23], v[30:31], v[18:19]
	v_mul_f64 v[20:21], v[28:29], v[18:19]
	v_fma_f64 v[24:25], v[30:31], v[18:19], -v[22:23]
	v_add_f64 v[32:33], v[20:21], v[24:25]
	v_add_f64 v[40:41], v[32:33], -v[20:21]
	v_add_f64 v[24:25], v[24:25], -v[40:41]
	;; [unrolled: 1-line block ×4, first 2 shown]
	v_add_f64 v[24:25], v[24:25], v[40:41]
	v_fma_f64 v[20:21], v[28:29], v[18:19], -v[20:21]
	v_mul_f64 v[40:41], v[26:27], v[18:19]
	v_add_f64 v[42:43], v[40:41], v[20:21]
	v_add_f64 v[34:35], v[22:23], v[32:33]
	;; [unrolled: 1-line block ×3, first 2 shown]
	v_ldexp_f64 v[36:37], v[34:35], -2
	v_add_f64 v[22:23], v[34:35], -v[22:23]
	v_add_f64 v[34:35], v[44:45], -v[42:43]
	;; [unrolled: 1-line block ×5, first 2 shown]
	v_add_f64 v[24:25], v[24:25], v[34:35]
	v_add_f64 v[34:35], v[42:43], -v[40:41]
	v_add_f64 v[20:21], v[20:21], -v[34:35]
	v_add_f64 v[34:35], v[42:43], -v[34:35]
	v_add_f64 v[34:35], v[40:41], -v[34:35]
	v_add_f64 v[22:23], v[32:33], -v[22:23]
	v_add_f64 v[20:21], v[20:21], v[34:35]
	v_fract_f64_e32 v[38:39], v[36:37]
	v_add_f64 v[32:33], v[22:23], v[44:45]
	v_add_f64 v[20:21], v[20:21], v[24:25]
	v_fma_f64 v[18:19], v[26:27], v[18:19], -v[40:41]
	v_add_f64 v[22:23], v[32:33], -v[22:23]
	v_add_f64 v[18:19], v[18:19], v[20:21]
	v_ldexp_f64 v[20:21], v[38:39], 2
	v_cmp_neq_f64_e64 vcc, |v[36:37]|, s[0:1]
	v_add_f64 v[22:23], v[44:45], -v[22:23]
	v_add_f64 v[18:19], v[22:23], v[18:19]
	v_cndmask_b32_e32 v21, 0, v21, vcc
	v_cndmask_b32_e32 v20, 0, v20, vcc
	v_add_f64 v[22:23], v[32:33], v[20:21]
	v_mov_b32_e32 v1, 0x40100000
	v_cmp_gt_f64_e32 vcc, 0, v[22:23]
	v_mov_b32_e32 v22, 0
	v_mov_b32_e32 v3, 0x3ff00000
	v_cndmask_b32_e32 v23, 0, v1, vcc
	v_add_f64 v[20:21], v[20:21], v[22:23]
	v_add_f64 v[24:25], v[32:33], v[20:21]
	v_cvt_i32_f64_e32 v1, v[24:25]
	v_cvt_f64_i32_e32 v[24:25], v1
	v_add_f64 v[20:21], v[20:21], -v[24:25]
	v_add_f64 v[24:25], v[32:33], v[20:21]
	v_add_f64 v[20:21], v[24:25], -v[20:21]
	v_cmp_le_f64_e32 vcc, 0.5, v[24:25]
	v_add_f64 v[20:21], v[32:33], -v[20:21]
	v_add_f64 v[18:19], v[18:19], v[20:21]
	v_cndmask_b32_e32 v23, 0, v3, vcc
	v_addc_co_u32_e64 v1, s[0:1], 0, v1, vcc
	v_add_f64 v[20:21], v[24:25], -v[22:23]
	v_add_f64 v[22:23], v[20:21], v[18:19]
	s_mov_b32 s0, 0x54442d18
	v_add_f64 v[20:21], v[22:23], -v[20:21]
	s_mov_b32 s1, 0x3ff921fb
	v_add_f64 v[18:19], v[18:19], -v[20:21]
	v_mul_f64 v[20:21], v[22:23], s[0:1]
	s_mov_b32 s10, 0x33145c07
	v_fma_f64 v[24:25], v[22:23], s[0:1], -v[20:21]
	s_mov_b32 s11, 0x3c91a626
	v_fmac_f64_e32 v[24:25], s[10:11], v[22:23]
	v_fmac_f64_e32 v[24:25], s[0:1], v[18:19]
	v_add_f64 v[18:19], v[20:21], v[24:25]
	v_add_f64 v[20:21], v[18:19], -v[20:21]
	v_add_f64 v[20:21], v[24:25], -v[20:21]
	s_andn2_saveexec_b64 s[0:1], s[8:9]
	s_cbranch_execz .LBB7_133
	s_branch .LBB7_132
.LBB7_131:
	s_andn2_saveexec_b64 s[0:1], s[8:9]
	s_cbranch_execz .LBB7_133
.LBB7_132:
	s_mov_b32 s8, 0x6dc9c883
	s_mov_b32 s9, 0x3fe45f30
	v_mul_f64 v[18:19], |v[16:17]|, s[8:9]
	s_mov_b32 s8, 0x54442d18
	v_rndne_f64_e32 v[22:23], v[18:19]
	s_mov_b32 s9, 0xbff921fb
	v_fma_f64 v[18:19], v[22:23], s[8:9], |v[16:17]|
	s_mov_b32 s9, 0xbc91a626
	s_mov_b32 s8, 0x33145c00
	v_mul_f64 v[24:25], v[22:23], s[8:9]
	v_add_f64 v[34:35], v[18:19], v[24:25]
	v_fma_f64 v[20:21], s[8:9], v[22:23], v[18:19]
	s_mov_b32 s9, 0x3c91a626
	v_add_f64 v[18:19], v[18:19], -v[34:35]
	v_fma_f64 v[32:33], s[8:9], v[22:23], v[24:25]
	v_add_f64 v[18:19], v[18:19], v[24:25]
	v_add_f64 v[24:25], v[34:35], -v[20:21]
	v_add_f64 v[18:19], v[24:25], v[18:19]
	s_mov_b32 s8, 0x252049c0
	v_add_f64 v[24:25], v[18:19], -v[32:33]
	s_mov_b32 s9, 0xb97b839a
	v_fmac_f64_e32 v[24:25], s[8:9], v[22:23]
	v_add_f64 v[18:19], v[20:21], v[24:25]
	v_add_f64 v[20:21], v[18:19], -v[20:21]
	v_add_f64 v[20:21], v[24:25], -v[20:21]
	v_cvt_i32_f64_e32 v1, v[22:23]
.LBB7_133:
	s_or_b64 exec, exec, s[0:1]
                                        ; implicit-def: $vgpr3
                                        ; implicit-def: $vgpr22_vgpr23
                                        ; implicit-def: $vgpr24_vgpr25
	s_and_saveexec_b64 s[0:1], s[6:7]
	s_xor_b64 s[6:7], exec, s[0:1]
	s_cbranch_execz .LBB7_135
; %bb.134:
	s_mov_b32 s0, 0
	s_mov_b32 s1, 0x7b000000
	s_movk_i32 s8, 0xff80
	v_and_b32_e32 v3, 0x7fffffff, v17
	v_ldexp_f64 v[22:23], |v[16:17]|, s8
	v_cmp_ge_f64_e64 vcc, |v[16:17]|, s[0:1]
	s_mov_b32 s0, 0
	s_mov_b32 s1, 0x7ff00000
	v_cndmask_b32_e32 v23, v3, v23, vcc
	v_cndmask_b32_e32 v22, v16, v22, vcc
	v_mul_f64 v[32:33], v[30:31], v[22:23]
	v_mul_f64 v[24:25], v[28:29], v[22:23]
	v_fma_f64 v[30:31], v[30:31], v[22:23], -v[32:33]
	v_add_f64 v[34:35], v[24:25], v[30:31]
	v_add_f64 v[42:43], v[34:35], -v[24:25]
	v_add_f64 v[30:31], v[30:31], -v[42:43]
	;; [unrolled: 1-line block ×4, first 2 shown]
	v_fma_f64 v[24:25], v[28:29], v[22:23], -v[24:25]
	v_mul_f64 v[28:29], v[26:27], v[22:23]
	v_add_f64 v[30:31], v[30:31], v[42:43]
	v_add_f64 v[42:43], v[28:29], v[24:25]
	;; [unrolled: 1-line block ×4, first 2 shown]
	v_ldexp_f64 v[38:39], v[36:37], -2
	v_add_f64 v[32:33], v[36:37], -v[32:33]
	v_add_f64 v[36:37], v[44:45], -v[42:43]
	;; [unrolled: 1-line block ×5, first 2 shown]
	v_add_f64 v[30:31], v[30:31], v[36:37]
	v_add_f64 v[36:37], v[42:43], -v[28:29]
	v_add_f64 v[24:25], v[24:25], -v[36:37]
	;; [unrolled: 1-line block ×4, first 2 shown]
	v_add_f64 v[24:25], v[24:25], v[36:37]
	v_fract_f64_e32 v[40:41], v[38:39]
	v_add_f64 v[24:25], v[24:25], v[30:31]
	v_fma_f64 v[22:23], v[26:27], v[22:23], -v[28:29]
	v_add_f64 v[32:33], v[34:35], -v[32:33]
	v_add_f64 v[22:23], v[22:23], v[24:25]
	v_ldexp_f64 v[24:25], v[40:41], 2
	v_cmp_neq_f64_e64 vcc, |v[38:39]|, s[0:1]
	v_add_f64 v[34:35], v[32:33], v[44:45]
	v_mov_b32_e32 v3, 0x40100000
	v_cndmask_b32_e32 v25, 0, v25, vcc
	v_cndmask_b32_e32 v24, 0, v24, vcc
	v_add_f64 v[26:27], v[34:35], v[24:25]
	v_cmp_gt_f64_e32 vcc, 0, v[26:27]
	v_mov_b32_e32 v26, 0
	v_add_f64 v[32:33], v[34:35], -v[32:33]
	v_cndmask_b32_e32 v27, 0, v3, vcc
	v_add_f64 v[24:25], v[24:25], v[26:27]
	v_add_f64 v[28:29], v[34:35], v[24:25]
	v_cvt_i32_f64_e32 v3, v[28:29]
	v_cvt_f64_i32_e32 v[28:29], v3
	v_add_f64 v[24:25], v[24:25], -v[28:29]
	v_add_f64 v[28:29], v[34:35], v[24:25]
	v_add_f64 v[32:33], v[44:45], -v[32:33]
	v_add_f64 v[24:25], v[28:29], -v[24:25]
	v_cmp_le_f64_e32 vcc, 0.5, v[28:29]
	v_mov_b32_e32 v5, 0x3ff00000
	v_add_f64 v[22:23], v[32:33], v[22:23]
	v_add_f64 v[24:25], v[34:35], -v[24:25]
	v_cndmask_b32_e32 v27, 0, v5, vcc
	v_add_f64 v[22:23], v[22:23], v[24:25]
	v_addc_co_u32_e64 v3, s[0:1], 0, v3, vcc
	v_add_f64 v[24:25], v[28:29], -v[26:27]
	v_add_f64 v[26:27], v[24:25], v[22:23]
	s_mov_b32 s0, 0x54442d18
	v_add_f64 v[24:25], v[26:27], -v[24:25]
	s_mov_b32 s1, 0x3ff921fb
	v_add_f64 v[22:23], v[22:23], -v[24:25]
	v_mul_f64 v[24:25], v[26:27], s[0:1]
	s_mov_b32 s8, 0x33145c07
	v_fma_f64 v[28:29], v[26:27], s[0:1], -v[24:25]
	s_mov_b32 s9, 0x3c91a626
	v_fmac_f64_e32 v[28:29], s[8:9], v[26:27]
	v_fmac_f64_e32 v[28:29], s[0:1], v[22:23]
	v_add_f64 v[22:23], v[24:25], v[28:29]
	v_add_f64 v[24:25], v[22:23], -v[24:25]
	v_add_f64 v[24:25], v[28:29], -v[24:25]
	s_andn2_saveexec_b64 s[0:1], s[6:7]
	s_cbranch_execnz .LBB7_136
	s_branch .LBB7_137
.LBB7_135:
	s_andn2_saveexec_b64 s[0:1], s[6:7]
	s_cbranch_execz .LBB7_137
.LBB7_136:
	s_mov_b32 s6, 0x6dc9c883
	s_mov_b32 s7, 0x3fe45f30
	v_mul_f64 v[22:23], |v[16:17]|, s[6:7]
	s_mov_b32 s6, 0x54442d18
	v_rndne_f64_e32 v[26:27], v[22:23]
	s_mov_b32 s7, 0xbff921fb
	v_fma_f64 v[22:23], v[26:27], s[6:7], |v[16:17]|
	s_mov_b32 s7, 0xbc91a626
	s_mov_b32 s6, 0x33145c00
	v_mul_f64 v[28:29], v[26:27], s[6:7]
	v_add_f64 v[32:33], v[22:23], v[28:29]
	v_fma_f64 v[24:25], s[6:7], v[26:27], v[22:23]
	s_mov_b32 s7, 0x3c91a626
	v_add_f64 v[22:23], v[22:23], -v[32:33]
	v_fma_f64 v[30:31], s[6:7], v[26:27], v[28:29]
	v_add_f64 v[22:23], v[22:23], v[28:29]
	v_add_f64 v[28:29], v[32:33], -v[24:25]
	v_add_f64 v[22:23], v[28:29], v[22:23]
	s_mov_b32 s6, 0x252049c0
	v_add_f64 v[28:29], v[22:23], -v[30:31]
	s_mov_b32 s7, 0xb97b839a
	v_fmac_f64_e32 v[28:29], s[6:7], v[26:27]
	v_add_f64 v[22:23], v[24:25], v[28:29]
	v_add_f64 v[24:25], v[22:23], -v[24:25]
	v_add_f64 v[24:25], v[28:29], -v[24:25]
	v_cvt_i32_f64_e32 v3, v[26:27]
.LBB7_137:
	s_or_b64 exec, exec, s[0:1]
	s_mov_b32 s0, 0
	s_mov_b32 s1, 0x40140000
	v_div_scale_f64 v[26:27], s[6:7], v[8:9], v[8:9], s[0:1]
	v_rcp_f64_e32 v[28:29], v[26:27]
	v_mov_b32_e32 v34, 0x5948aa83
	v_mov_b32_e32 v35, 0x3fb19fdd
	;; [unrolled: 1-line block ×3, first 2 shown]
	v_fma_f64 v[30:31], -v[26:27], v[28:29], 1.0
	v_fmac_f64_e32 v[28:29], v[28:29], v[30:31]
	v_fma_f64 v[30:31], -v[26:27], v[28:29], 1.0
	v_fmac_f64_e32 v[28:29], v[28:29], v[30:31]
	v_div_scale_f64 v[30:31], vcc, s[0:1], v[8:9], s[0:1]
	v_mul_f64 v[32:33], v[30:31], v[28:29]
	v_fma_f64 v[26:27], -v[26:27], v[32:33], v[30:31]
	v_mov_b32_e32 v37, 0x4013edb5
	s_nop 0
	v_div_fmas_f64 v[26:27], v[26:27], v[28:29], v[32:33]
	v_div_fixup_f64 v[26:27], v[26:27], v[8:9], s[0:1]
	v_mul_f64 v[30:31], v[26:27], v[26:27]
	v_mov_b32_e32 v28, 0x4c6c651b
	v_mov_b32_e32 v29, 0x3f48f92c
	v_fmac_f64_e32 v[28:29], 0, v[30:31]
	v_mov_b32_e32 v32, 0xa3fec4b6
	v_mov_b32_e32 v33, 0x3fb2b948
	v_fmac_f64_e32 v[32:33], v[30:31], v[28:29]
	;; [unrolled: 3-line block ×7, first 2 shown]
	v_fmac_f64_e32 v[34:35], v[30:31], v[28:29]
	v_mov_b32_e32 v28, 0xb850eed6
	v_mov_b32_e32 v29, 0x3ff1aea9
	v_fmac_f64_e32 v[28:29], v[30:31], v[34:35]
	v_mov_b32_e32 v34, 0xf7d251a1
	v_mov_b32_e32 v35, 0x40144ba2
	;; [unrolled: 3-line block ×5, first 2 shown]
	v_fmac_f64_e32 v[28:29], 0, v[30:31]
	v_fmac_f64_e32 v[36:37], v[30:31], v[28:29]
	v_mov_b32_e32 v28, 0x9acf1c67
	v_mov_b32_e32 v29, 0x4052f4b9
	v_fmac_f64_e32 v[28:29], v[30:31], v[36:37]
	v_mov_b32_e32 v36, 0x47aa180d
	v_mov_b32_e32 v37, 0x4076ec79
	v_fmac_f64_e32 v[36:37], v[30:31], v[28:29]
	v_mov_b32_e32 v28, 0xb66f6e50
	v_mov_b32_e32 v29, 0x408636d9
	v_fmac_f64_e32 v[28:29], v[30:31], v[36:37]
	v_mov_b32_e32 v36, 0xb9e802d0
	v_mov_b32_e32 v37, 0x4082abea
	v_fmac_f64_e32 v[36:37], v[30:31], v[28:29]
	v_mov_b32_e32 v38, 0x4c54bb0b
	v_mov_b32_e32 v39, 0x406a760a
	v_fmac_f64_e32 v[38:39], v[30:31], v[36:37]
	v_mov_b32_e32 v28, 0x4d159eb5
	v_mov_b32_e32 v29, 0x403934ff
	v_mov_b32_e32 v36, 0x60895077
	v_mov_b32_e32 v37, 0x40528f30
	v_fmac_f64_e32 v[28:29], v[30:31], v[38:39]
	v_fmac_f64_e32 v[36:37], 0, v[30:31]
	v_mov_b32_e32 v38, 0xa20e5f6f
	v_mov_b32_e32 v39, 0x409081cb
	v_fmac_f64_e32 v[38:39], v[30:31], v[36:37]
	v_mov_b32_e32 v36, 0x1bfdfe81
	v_mov_b32_e32 v37, 0x40b37a69
	;; [unrolled: 3-line block ×5, first 2 shown]
	v_fma_f64 v[34:35], v[30:31], v[34:35], 1.0
	v_fmac_f64_e32 v[38:39], v[30:31], v[36:37]
	v_fma_f64 v[36:37], v[30:31], v[32:33], 1.0
	v_div_scale_f64 v[40:41], s[0:1], v[34:35], v[34:35], v[36:37]
	v_rcp_f64_e32 v[42:43], v[40:41]
	v_mov_b32_e32 v32, 0x6ae75997
	v_mov_b32_e32 v33, 0x4075017f
	v_fmac_f64_e32 v[32:33], v[30:31], v[38:39]
	v_fma_f64 v[30:31], -v[40:41], v[42:43], 1.0
	v_fmac_f64_e32 v[42:43], v[42:43], v[30:31]
	v_fma_f64 v[30:31], -v[40:41], v[42:43], 1.0
	v_fmac_f64_e32 v[42:43], v[42:43], v[30:31]
	v_div_scale_f64 v[30:31], vcc, v[36:37], v[34:35], v[36:37]
	v_mul_f64 v[38:39], v[30:31], v[42:43]
	v_fma_f64 v[30:31], -v[40:41], v[38:39], v[30:31]
	s_mov_b32 s0, 0x9037ab78
	s_nop 0
	v_div_fmas_f64 v[30:31], v[30:31], v[42:43], v[38:39]
	s_mov_b32 s1, 0x3e21eeb6
	s_mov_b32 s6, 0x46cc5e42
	v_div_fixup_f64 v[30:31], v[30:31], v[34:35], v[36:37]
	v_mul_f64 v[34:35], v[18:19], v[18:19]
	s_mov_b32 s7, 0xbda907db
	v_mov_b64_e32 v[42:43], s[0:1]
	s_mov_b32 s8, 0xa17f65f6
	v_mul_f64 v[36:37], v[34:35], 0.5
	v_fma_f64 v[44:45], s[6:7], v[34:35], v[42:43]
	s_mov_b32 s9, 0xbe927e4f
	s_mov_b32 s10, 0x19f4ec90
	v_add_f64 v[38:39], -v[36:37], 1.0
	v_fma_f64 v[44:45], v[34:35], v[44:45], s[8:9]
	s_mov_b32 s11, 0x3efa01a0
	s_mov_b32 s12, 0x16c16967
	v_add_f64 v[40:41], -v[38:39], 1.0
	v_fma_f64 v[44:45], v[34:35], v[44:45], s[10:11]
	s_mov_b32 s13, 0xbf56c16c
	s_mov_b32 s14, 0x55555555
	v_add_f64 v[36:37], v[40:41], -v[36:37]
	v_fma_f64 v[44:45], v[34:35], v[44:45], s[12:13]
	s_mov_b32 s15, 0x3fa55555
	v_mul_f64 v[40:41], v[34:35], v[34:35]
	v_fma_f64 v[44:45], v[34:35], v[44:45], s[14:15]
	v_fma_f64 v[36:37], v[18:19], -v[20:21], v[36:37]
	s_mov_b32 s0, 0xb42fdfa7
	v_fmac_f64_e32 v[36:37], v[40:41], v[44:45]
	s_mov_b32 s1, 0xbe5ae600
	s_mov_b32 s16, 0xf9a43bb8
	v_add_f64 v[36:37], v[38:39], v[36:37]
	s_mov_b32 s17, 0x3de5e0b2
	v_mov_b64_e32 v[38:39], s[0:1]
	s_mov_b32 s18, 0x796cde01
	v_fma_f64 v[40:41], s[16:17], v[34:35], v[38:39]
	s_mov_b32 s19, 0x3ec71de3
	s_mov_b32 s20, 0x19e83e5c
	v_fma_f64 v[40:41], v[34:35], v[40:41], s[18:19]
	s_mov_b32 s21, 0xbf2a01a0
	;; [unrolled: 3-line block ×3, first 2 shown]
	v_fma_f64 v[40:41], v[34:35], v[40:41], s[22:23]
	v_mul_f64 v[44:45], v[18:19], -v[34:35]
	v_mul_f64 v[46:47], v[20:21], 0.5
	v_fmac_f64_e32 v[46:47], v[44:45], v[40:41]
	v_fma_f64 v[20:21], v[34:35], v[46:47], -v[20:21]
	s_mov_b32 s25, 0xbfc55555
	s_mov_b32 s24, s14
	v_fmac_f64_e32 v[20:21], s[24:25], v[44:45]
	v_and_b32_e32 v5, 1, v1
	v_add_f64 v[18:19], v[18:19], -v[20:21]
	v_cmp_eq_u32_e32 vcc, 0, v5
	v_lshlrev_b32_e32 v1, 30, v1
	s_movk_i32 s27, 0x1f8
	v_cndmask_b32_e32 v5, v36, v18, vcc
	v_cndmask_b32_e32 v7, v37, v19, vcc
	v_div_scale_f64 v[18:19], s[0:1], v[32:33], v[32:33], v[28:29]
	v_rcp_f64_e32 v[20:21], v[18:19]
	v_xor_b32_e32 v1, v1, v17
	s_brev_b32 s26, 1
	v_cmp_class_f64_e64 s[0:1], v[16:17], s27
	v_fma_f64 v[34:35], -v[18:19], v[20:21], 1.0
	v_fmac_f64_e32 v[20:21], v[20:21], v[34:35]
	v_fma_f64 v[34:35], -v[18:19], v[20:21], 1.0
	v_fmac_f64_e32 v[20:21], v[20:21], v[34:35]
	v_div_scale_f64 v[34:35], vcc, v[28:29], v[32:33], v[28:29]
	v_mul_f64 v[36:37], v[34:35], v[20:21]
	v_fma_f64 v[18:19], -v[18:19], v[36:37], v[34:35]
	v_bitop3_b32 v1, v7, v1, s26 bitop3:0x78
	s_nop 0
	v_div_fmas_f64 v[18:19], v[18:19], v[20:21], v[36:37]
	v_div_fixup_f64 v[18:19], v[18:19], v[32:33], v[28:29]
	v_mul_f64 v[20:21], v[22:23], v[22:23]
	v_mul_f64 v[18:19], v[26:27], v[18:19]
	v_mul_f64 v[26:27], v[20:21], 0.5
	v_fmac_f64_e32 v[42:43], s[6:7], v[20:21]
	v_add_f64 v[28:29], -v[26:27], 1.0
	v_fma_f64 v[34:35], v[20:21], v[42:43], s[8:9]
	v_add_f64 v[32:33], -v[28:29], 1.0
	v_fma_f64 v[34:35], v[20:21], v[34:35], s[10:11]
	v_add_f64 v[26:27], v[32:33], -v[26:27]
	v_fma_f64 v[34:35], v[20:21], v[34:35], s[12:13]
	v_mul_f64 v[32:33], v[20:21], v[20:21]
	v_fma_f64 v[34:35], v[20:21], v[34:35], s[14:15]
	v_fma_f64 v[26:27], v[22:23], -v[24:25], v[26:27]
	v_fmac_f64_e32 v[26:27], v[32:33], v[34:35]
	v_fmac_f64_e32 v[38:39], s[16:17], v[20:21]
	v_add_f64 v[26:27], v[28:29], v[26:27]
	v_fma_f64 v[28:29], v[20:21], v[38:39], s[18:19]
	v_fma_f64 v[28:29], v[20:21], v[28:29], s[20:21]
	;; [unrolled: 1-line block ×3, first 2 shown]
	v_mul_f64 v[32:33], v[22:23], -v[20:21]
	v_mul_f64 v[34:35], v[24:25], 0.5
	v_fmac_f64_e32 v[34:35], v[32:33], v[28:29]
	v_fma_f64 v[20:21], v[20:21], v[34:35], -v[24:25]
	v_fmac_f64_e32 v[20:21], s[24:25], v[32:33]
	v_cndmask_b32_e64 v16, 0, v5, s[0:1]
	v_mov_b32_e32 v5, 0x7ff80000
	v_add_f64 v[20:21], v[22:23], -v[20:21]
	v_and_b32_e32 v7, 1, v3
	v_cndmask_b32_e64 v17, v5, v1, s[0:1]
	v_xor_b32_e32 v1, 0x80000000, v21
	v_cmp_eq_u32_e32 vcc, 0, v7
	v_lshlrev_b32_e32 v3, 30, v3
	s_nop 0
	v_cndmask_b32_e32 v1, v1, v27, vcc
	v_cndmask_b32_e32 v7, v20, v26, vcc
	v_bitop3_b32 v1, v1, v3, s26 bitop3:0x78
	v_cndmask_b32_e64 v20, 0, v7, s[0:1]
	v_cndmask_b32_e64 v21, v5, v1, s[0:1]
	s_mov_b32 s0, 0
	s_brev_b32 s1, 8
	v_mov_b32_e32 v1, 0x100
	v_cmp_gt_f64_e32 vcc, s[0:1], v[8:9]
	v_mul_f64 v[18:19], v[18:19], v[20:21]
	v_fmac_f64_e32 v[18:19], v[30:31], v[16:17]
	v_cndmask_b32_e32 v1, 0, v1, vcc
	v_ldexp_f64 v[8:9], v[8:9], v1
	v_rsq_f64_e32 v[16:17], v[8:9]
	v_mov_b32_e32 v1, 0xffffff80
	v_cndmask_b32_e32 v1, 0, v1, vcc
	s_mov_b32 s0, 0x33d43651
	v_mul_f64 v[20:21], v[8:9], v[16:17]
	v_mul_f64 v[16:17], v[16:17], 0.5
	v_fma_f64 v[22:23], -v[16:17], v[20:21], 0.5
	v_fmac_f64_e32 v[20:21], v[20:21], v[22:23]
	v_fma_f64 v[24:25], -v[20:21], v[20:21], v[8:9]
	v_fmac_f64_e32 v[16:17], v[16:17], v[22:23]
	v_fmac_f64_e32 v[20:21], v[24:25], v[16:17]
	v_fma_f64 v[22:23], -v[20:21], v[20:21], v[8:9]
	v_fmac_f64_e32 v[20:21], v[22:23], v[16:17]
	v_ldexp_f64 v[16:17], v[20:21], v1
	v_mov_b32_e32 v1, 0x260
	s_mov_b32 s1, 0x3fe98845
	v_cmp_class_f64_e32 vcc, v[8:9], v1
	v_mul_f64 v[18:19], v[18:19], s[0:1]
	s_nop 0
	v_cndmask_b32_e32 v9, v17, v9, vcc
	v_cndmask_b32_e32 v8, v16, v8, vcc
	v_div_scale_f64 v[16:17], s[0:1], v[8:9], v[8:9], v[18:19]
	v_rcp_f64_e32 v[20:21], v[16:17]
	s_nop 0
	v_fma_f64 v[22:23], -v[16:17], v[20:21], 1.0
	v_fmac_f64_e32 v[20:21], v[20:21], v[22:23]
	v_fma_f64 v[22:23], -v[16:17], v[20:21], 1.0
	v_fmac_f64_e32 v[20:21], v[20:21], v[22:23]
	v_div_scale_f64 v[22:23], vcc, v[18:19], v[8:9], v[18:19]
	v_mul_f64 v[24:25], v[22:23], v[20:21]
	v_fma_f64 v[16:17], -v[16:17], v[24:25], v[22:23]
	s_nop 1
	v_div_fmas_f64 v[16:17], v[16:17], v[20:21], v[24:25]
	v_div_fixup_f64 v[18:19], v[16:17], v[8:9], v[18:19]
.LBB7_138:
	s_or_b64 exec, exec, s[2:3]
	global_store_dwordx2 v0, v[10:11], s[4:5]
	global_store_dwordx2 v2, v[14:15], s[4:5]
	;; [unrolled: 1-line block ×4, first 2 shown]
	s_endpgm
.LBB7_139:
	v_mov_b32_e32 v2, 0
	v_mov_b32_e32 v0, 0
	s_branch .LBB7_145
.LBB7_140:
	v_mov_b32_e32 v2, 0
	v_mov_b32_e32 v0, 0
	s_branch .LBB7_178
.LBB7_141:
	v_mov_b32_e32 v0, 0
	s_mov_b32 s57, 0
	v_mov_b32_e32 v1, v0
                                        ; implicit-def: $vgpr2
	v_mov_b32_e32 v4, v22
.LBB7_142:
	s_and_b32 s4, s58, 3
	s_cmp_eq_u32 s4, 0
	s_cbranch_scc1 .LBB7_145
; %bb.143:
	s_lshl_b32 s0, s57, 3
	s_add_u32 s0, s34, s0
	s_addc_u32 s1, s35, 0
	s_add_u32 s0, s0, 0xc4
	s_addc_u32 s1, s1, 0
	s_mul_i32 s2, s57, 12
	s_add_u32 s2, s34, s2
	s_addc_u32 s3, s35, 0
.LBB7_144:                              ; =>This Inner Loop Header: Depth=1
	s_load_dwordx2 s[6:7], s[2:3], 0x4
	s_load_dword s5, s[2:3], 0xc
	s_load_dwordx2 s[8:9], s[0:1], 0x0
	v_mov_b32_e32 v2, v1
	s_add_u32 s2, s2, 12
	s_waitcnt lgkmcnt(0)
	v_mul_hi_u32 v1, s7, v4
	v_add_u32_e32 v1, v4, v1
	v_lshrrev_b32_e32 v1, s5, v1
	s_addc_u32 s3, s3, 0
	v_mul_lo_u32 v3, v1, s6
	s_add_u32 s0, s0, 8
	v_sub_u32_e32 v5, v4, v3
	s_addc_u32 s1, s1, 0
	s_add_i32 s4, s4, -1
	v_mov_b32_e32 v4, v1
	v_mad_u64_u32 v[2:3], s[6:7], v5, s9, v[2:3]
	v_mad_u64_u32 v[0:1], s[6:7], v5, s8, v[0:1]
	s_cmp_lg_u32 s4, 0
	v_mov_b32_e32 v1, v2
	s_cbranch_scc1 .LBB7_144
.LBB7_145:
	s_cbranch_execnz .LBB7_148
.LBB7_146:
	s_waitcnt lgkmcnt(0)
	v_mul_hi_u32 v0, s25, v22
	v_add_u32_e32 v0, v22, v0
	v_lshrrev_b32_e32 v1, s26, v0
	v_mul_lo_u32 v0, v1, s24
	v_sub_u32_e32 v0, v22, v0
	v_mul_lo_u32 v2, v0, s21
	s_andn2_b64 vcc, exec, s[42:43]
	v_mul_lo_u32 v0, v0, s20
	s_cbranch_vccnz .LBB7_148
; %bb.147:
	v_mul_hi_u32 v3, s40, v1
	v_add_u32_e32 v3, v1, v3
	v_lshrrev_b32_e32 v3, s41, v3
	v_mul_lo_u32 v3, v3, s27
	v_sub_u32_e32 v3, v1, v3
	v_mad_u64_u32 v[0:1], s[0:1], v3, s22, v[0:1]
	v_mad_u64_u32 v[2:3], s[0:1], v3, s23, v[2:3]
.LBB7_148:
	s_waitcnt lgkmcnt(0)
	global_load_dwordx2 v[2:3], v2, s[18:19]
	s_mov_b32 s0, 0
	s_mov_b32 s1, 0x40140000
                                        ; implicit-def: $vgpr6_vgpr7
	s_waitcnt vmcnt(0)
	v_cmp_ge_f64_e32 vcc, s[0:1], v[2:3]
	s_and_saveexec_b64 s[0:1], vcc
	s_xor_b64 s[0:1], exec, s[0:1]
	s_cbranch_execz .LBB7_154
; %bb.149:
	v_mov_b32_e32 v6, 0
	v_cmp_neq_f64_e32 vcc, 0, v[2:3]
	v_mov_b32_e32 v7, 0xfff00000
	s_and_saveexec_b64 s[2:3], vcc
	s_cbranch_execz .LBB7_153
; %bb.150:
	v_mov_b32_e32 v6, 0
	v_cmp_nge_f64_e32 vcc, 0, v[2:3]
	v_mov_b32_e32 v7, 0x7ff80000
	s_and_saveexec_b64 s[4:5], vcc
	s_cbranch_execz .LBB7_152
; %bb.151:
	v_mul_f64 v[4:5], v[2:3], v[2:3]
	v_mov_b32_e32 v6, 0x62f9b6c5
	v_mov_b32_e32 v7, 0x41d2d2be
	v_fmac_f64_e32 v[6:7], 0, v[4:5]
	v_mov_b32_e32 v8, 0x58836521
	v_mov_b32_e32 v9, 0xc262d72d
	v_fmac_f64_e32 v[8:9], v[4:5], v[6:7]
	;; [unrolled: 3-line block ×14, first 2 shown]
	v_div_scale_f64 v[6:7], s[6:7], v[10:11], v[10:11], v[8:9]
	v_rcp_f64_e32 v[12:13], v[6:7]
	v_mov_b32_e32 v18, 0xd438c6b
	v_mov_b32_e32 v19, 0x425a52ba
	;; [unrolled: 1-line block ×3, first 2 shown]
	v_fma_f64 v[14:15], -v[6:7], v[12:13], 1.0
	v_fmac_f64_e32 v[12:13], v[12:13], v[14:15]
	v_fma_f64 v[14:15], -v[6:7], v[12:13], 1.0
	v_fmac_f64_e32 v[12:13], v[12:13], v[14:15]
	v_div_scale_f64 v[14:15], vcc, v[8:9], v[10:11], v[8:9]
	v_mul_f64 v[16:17], v[14:15], v[12:13]
	v_fma_f64 v[6:7], -v[6:7], v[16:17], v[14:15]
	v_mov_b32_e32 v14, 0x4cda4fc5
	v_mov_b32_e32 v15, 0xc1cad23c
	v_fmac_f64_e32 v[14:15], 0, v[4:5]
	v_fmac_f64_e32 v[18:19], v[4:5], v[14:15]
	v_mov_b32_e32 v14, 0xe6ccf175
	v_mov_b32_e32 v15, 0xc2d08a92
	v_fmac_f64_e32 v[14:15], v[4:5], v[18:19]
	v_mov_b32_e32 v18, 0x1b7086e7
	v_mov_b32_e32 v19, 0x408366b1
	v_fmac_f64_e32 v[18:19], 0, v[4:5]
	v_mov_b32_e32 v21, 0x410f5eda
	v_fmac_f64_e32 v[20:21], v[4:5], v[18:19]
	v_mov_b32_e32 v18, 0xdc92a1b1
	v_mov_b32_e32 v19, 0x4193e954
	v_fmac_f64_e32 v[18:19], v[4:5], v[20:21]
	v_mov_b32_e32 v20, 0x7befeac1
	;; [unrolled: 3-line block ×7, first 2 shown]
	v_mov_b32_e32 v19, 0x432a2b42
	v_fmac_f64_e32 v[18:19], v[4:5], v[14:15]
	v_div_scale_f64 v[14:15], s[6:7], v[20:21], v[20:21], v[18:19]
	v_rcp_f64_e32 v[24:25], v[14:15]
	v_div_fmas_f64 v[4:5], v[6:7], v[12:13], v[16:17]
	v_div_fixup_f64 v[4:5], v[4:5], v[10:11], v[8:9]
	s_mov_b32 s6, 0x55555555
	v_fma_f64 v[6:7], -v[14:15], v[24:25], 1.0
	v_fmac_f64_e32 v[24:25], v[24:25], v[6:7]
	v_fma_f64 v[6:7], -v[14:15], v[24:25], 1.0
	v_fmac_f64_e32 v[24:25], v[24:25], v[6:7]
	v_div_scale_f64 v[6:7], vcc, v[18:19], v[20:21], v[18:19]
	v_mul_f64 v[8:9], v[6:7], v[24:25]
	v_fma_f64 v[6:7], -v[14:15], v[8:9], v[6:7]
	s_mov_b32 s7, 0x3fe55555
	s_nop 0
	v_div_fmas_f64 v[6:7], v[6:7], v[24:25], v[8:9]
	v_div_fixup_f64 v[6:7], v[6:7], v[20:21], v[18:19]
	v_mov_b32_e32 v8, 0x4189822c
	v_mov_b32_e32 v9, 0xc02d5d2b
	v_mul_f64 v[6:7], v[2:3], v[6:7]
	v_fmac_f64_e32 v[8:9], v[2:3], v[2:3]
	v_mul_f64 v[6:7], v[8:9], v[6:7]
	v_mov_b32_e32 v8, 0x6072a432
	v_mov_b32_e32 v9, 0xc0489bf6
	v_fmac_f64_e32 v[8:9], v[2:3], v[2:3]
	v_mul_f64 v[6:7], v[8:9], v[6:7]
	v_frexp_mant_f64_e32 v[8:9], v[2:3]
	v_cmp_gt_f64_e32 vcc, s[6:7], v[8:9]
	s_mov_b32 s6, 0xbf559e2b
	s_mov_b32 s7, 0x3fc3ab76
	v_cndmask_b32_e64 v10, 0, 1, vcc
	v_ldexp_f64 v[8:9], v[8:9], v10
	v_add_f64 v[10:11], v[8:9], 1.0
	v_rcp_f64_e32 v[12:13], v[10:11]
	v_add_f64 v[16:17], v[10:11], -1.0
	v_add_f64 v[14:15], v[8:9], -1.0
	v_add_f64 v[8:9], v[8:9], -v[16:17]
	v_fma_f64 v[16:17], -v[10:11], v[12:13], 1.0
	v_fmac_f64_e32 v[12:13], v[16:17], v[12:13]
	v_fma_f64 v[16:17], -v[10:11], v[12:13], 1.0
	v_fmac_f64_e32 v[12:13], v[16:17], v[12:13]
	v_mul_f64 v[16:17], v[14:15], v[12:13]
	v_mul_f64 v[18:19], v[10:11], v[16:17]
	v_fma_f64 v[10:11], v[16:17], v[10:11], -v[18:19]
	v_fmac_f64_e32 v[10:11], v[16:17], v[8:9]
	v_add_f64 v[8:9], v[18:19], v[10:11]
	v_add_f64 v[20:21], v[14:15], -v[8:9]
	v_add_f64 v[18:19], v[8:9], -v[18:19]
	;; [unrolled: 1-line block ×5, first 2 shown]
	v_add_f64 v[8:9], v[10:11], v[8:9]
	v_add_f64 v[8:9], v[20:21], v[8:9]
	v_mul_f64 v[8:9], v[12:13], v[8:9]
	v_add_f64 v[10:11], v[16:17], v[8:9]
	v_add_f64 v[12:13], v[10:11], -v[16:17]
	v_add_f64 v[8:9], v[8:9], -v[12:13]
	v_mul_f64 v[12:13], v[10:11], v[10:11]
	v_mov_b32_e32 v14, 0x6b47b09a
	v_mov_b32_e32 v15, 0x3fc38538
	v_fmac_f64_e32 v[14:15], s[6:7], v[12:13]
	v_mov_b32_e32 v16, 0xd7f4df2e
	v_mov_b32_e32 v17, 0x3fc7474d
	v_fmac_f64_e32 v[16:17], v[12:13], v[14:15]
	;; [unrolled: 3-line block ×6, first 2 shown]
	v_ldexp_f64 v[14:15], v[10:11], 1
	v_mul_f64 v[10:11], v[10:11], v[12:13]
	v_mul_f64 v[10:11], v[10:11], v[16:17]
	v_add_f64 v[12:13], v[14:15], v[10:11]
	v_add_f64 v[14:15], v[12:13], -v[14:15]
	v_ldexp_f64 v[8:9], v[8:9], 1
	v_add_f64 v[10:11], v[10:11], -v[14:15]
	v_add_f64 v[8:9], v[8:9], v[10:11]
	v_frexp_exp_i32_f64_e32 v1, v[2:3]
	v_add_f64 v[10:11], v[12:13], v[8:9]
	v_subbrev_co_u32_e32 v1, vcc, 0, v1, vcc
	v_add_f64 v[12:13], v[10:11], -v[12:13]
	s_mov_b32 s6, 0xfefa39ef
	v_add_f64 v[8:9], v[8:9], -v[12:13]
	v_cvt_f64_i32_e32 v[12:13], v1
	s_mov_b32 s7, 0x3fe62e42
	v_mul_f64 v[14:15], v[12:13], s[6:7]
	v_fma_f64 v[16:17], v[12:13], s[6:7], -v[14:15]
	s_mov_b32 s6, 0x3b39803f
	s_mov_b32 s7, 0x3c7abc9e
	v_fmac_f64_e32 v[16:17], s[6:7], v[12:13]
	v_add_f64 v[12:13], v[14:15], v[16:17]
	v_add_f64 v[14:15], v[12:13], -v[14:15]
	v_add_f64 v[14:15], v[16:17], -v[14:15]
	v_add_f64 v[16:17], v[12:13], v[10:11]
	v_add_f64 v[18:19], v[16:17], -v[12:13]
	v_add_f64 v[20:21], v[16:17], -v[18:19]
	;; [unrolled: 1-line block ×4, first 2 shown]
	v_add_f64 v[10:11], v[10:11], v[12:13]
	v_add_f64 v[12:13], v[14:15], v[8:9]
	v_add_f64 v[18:19], v[12:13], -v[14:15]
	v_add_f64 v[20:21], v[12:13], -v[18:19]
	v_add_f64 v[10:11], v[12:13], v[10:11]
	v_add_f64 v[14:15], v[14:15], -v[20:21]
	v_add_f64 v[8:9], v[8:9], -v[18:19]
	v_add_f64 v[12:13], v[16:17], v[10:11]
	v_add_f64 v[8:9], v[8:9], v[14:15]
	v_add_f64 v[14:15], v[12:13], -v[16:17]
	v_div_scale_f64 v[16:17], s[6:7], v[2:3], v[2:3], -1.0
	v_rcp_f64_e32 v[18:19], v[16:17]
	v_add_f64 v[10:11], v[10:11], -v[14:15]
	v_add_f64 v[8:9], v[8:9], v[10:11]
	v_add_f64 v[8:9], v[12:13], v[8:9]
	v_fma_f64 v[10:11], -v[16:17], v[18:19], 1.0
	v_fmac_f64_e32 v[18:19], v[18:19], v[10:11]
	v_fma_f64 v[10:11], -v[16:17], v[18:19], 1.0
	v_fmac_f64_e32 v[18:19], v[18:19], v[10:11]
	v_div_scale_f64 v[10:11], vcc, -1.0, v[2:3], -1.0
	v_mul_f64 v[12:13], v[10:11], v[18:19]
	v_fma_f64 v[10:11], -v[16:17], v[12:13], v[10:11]
	s_mov_b32 s6, 0x6dc9c883
	s_nop 0
	v_div_fmas_f64 v[10:11], v[10:11], v[18:19], v[12:13]
	v_div_fixup_f64 v[10:11], v[10:11], v[2:3], -1.0
	v_fmac_f64_e32 v[10:11], v[6:7], v[8:9]
	s_mov_b32 s7, 0x3fe45f30
	v_mul_f64 v[6:7], v[10:11], s[6:7]
	v_fmac_f64_e32 v[6:7], v[2:3], v[4:5]
.LBB7_152:
	s_or_b64 exec, exec, s[4:5]
.LBB7_153:
	s_or_b64 exec, exec, s[2:3]
                                        ; implicit-def: $vgpr2_vgpr3
.LBB7_154:
	s_andn2_saveexec_b64 s[2:3], s[0:1]
	s_cbranch_execz .LBB7_164
; %bb.155:
	s_mov_b32 s0, 0x7f3321d2
	s_mov_b32 s1, 0xc002d97c
	v_add_f64 v[4:5], v[2:3], s[0:1]
	s_mov_b32 s0, 0
	s_mov_b32 s1, 0x41d00000
	v_cmp_nlt_f64_e64 s[4:5], |v[4:5]|, s[0:1]
                                        ; implicit-def: $vgpr1
                                        ; implicit-def: $vgpr6_vgpr7
                                        ; implicit-def: $vgpr8_vgpr9
	s_and_saveexec_b64 s[0:1], s[4:5]
	s_xor_b64 s[6:7], exec, s[0:1]
	s_cbranch_execz .LBB7_157
; %bb.156:
	s_mov_b32 s0, 0
	s_mov_b32 s1, 0x7b000000
	s_movk_i32 s8, 0xff80
	v_and_b32_e32 v1, 0x7fffffff, v5
	v_ldexp_f64 v[10:11], |v[4:5]|, s8
	v_cmp_ge_f64_e64 vcc, |v[4:5]|, s[0:1]
	v_trig_preop_f64 v[6:7], |v[4:5]|, 0
	v_trig_preop_f64 v[8:9], |v[4:5]|, 1
	v_cndmask_b32_e32 v11, v1, v11, vcc
	v_cndmask_b32_e32 v10, v4, v10, vcc
	v_mul_f64 v[14:15], v[6:7], v[10:11]
	v_mul_f64 v[12:13], v[8:9], v[10:11]
	v_fma_f64 v[6:7], v[6:7], v[10:11], -v[14:15]
	v_add_f64 v[16:17], v[12:13], v[6:7]
	v_add_f64 v[26:27], v[16:17], -v[12:13]
	v_add_f64 v[6:7], v[6:7], -v[26:27]
	;; [unrolled: 1-line block ×4, first 2 shown]
	v_fma_f64 v[8:9], v[8:9], v[10:11], -v[12:13]
	v_trig_preop_f64 v[12:13], |v[4:5]|, 2
	v_add_f64 v[6:7], v[6:7], v[26:27]
	v_mul_f64 v[26:27], v[12:13], v[10:11]
	v_add_f64 v[28:29], v[26:27], v[8:9]
	v_add_f64 v[18:19], v[14:15], v[16:17]
	;; [unrolled: 1-line block ×3, first 2 shown]
	v_ldexp_f64 v[20:21], v[18:19], -2
	v_add_f64 v[14:15], v[18:19], -v[14:15]
	v_add_f64 v[18:19], v[30:31], -v[28:29]
	;; [unrolled: 1-line block ×5, first 2 shown]
	v_add_f64 v[6:7], v[6:7], v[18:19]
	v_add_f64 v[18:19], v[28:29], -v[26:27]
	v_add_f64 v[8:9], v[8:9], -v[18:19]
	;; [unrolled: 1-line block ×4, first 2 shown]
	v_add_f64 v[8:9], v[8:9], v[18:19]
	s_mov_b32 s0, 0
	v_fract_f64_e32 v[24:25], v[20:21]
	v_add_f64 v[6:7], v[8:9], v[6:7]
	v_fma_f64 v[8:9], v[12:13], v[10:11], -v[26:27]
	s_mov_b32 s1, 0x7ff00000
	v_add_f64 v[14:15], v[16:17], -v[14:15]
	v_add_f64 v[6:7], v[8:9], v[6:7]
	v_ldexp_f64 v[8:9], v[24:25], 2
	v_cmp_neq_f64_e64 vcc, |v[20:21]|, s[0:1]
	v_add_f64 v[16:17], v[14:15], v[30:31]
	v_mov_b32_e32 v1, 0x40100000
	v_cndmask_b32_e32 v9, 0, v9, vcc
	v_cndmask_b32_e32 v8, 0, v8, vcc
	v_add_f64 v[10:11], v[16:17], v[8:9]
	v_cmp_gt_f64_e32 vcc, 0, v[10:11]
	v_mov_b32_e32 v10, 0
	v_add_f64 v[14:15], v[16:17], -v[14:15]
	v_cndmask_b32_e32 v11, 0, v1, vcc
	v_add_f64 v[8:9], v[8:9], v[10:11]
	v_add_f64 v[12:13], v[16:17], v[8:9]
	v_cvt_i32_f64_e32 v1, v[12:13]
	v_cvt_f64_i32_e32 v[12:13], v1
	v_add_f64 v[8:9], v[8:9], -v[12:13]
	v_add_f64 v[12:13], v[16:17], v[8:9]
	v_add_f64 v[14:15], v[30:31], -v[14:15]
	v_add_f64 v[8:9], v[12:13], -v[8:9]
	v_add_f64 v[6:7], v[14:15], v[6:7]
	v_add_f64 v[8:9], v[16:17], -v[8:9]
	v_add_f64 v[6:7], v[6:7], v[8:9]
	v_cmp_le_f64_e32 vcc, 0.5, v[12:13]
	v_mov_b32_e32 v8, 0x3ff00000
	s_mov_b32 s8, 0x33145c07
	v_cndmask_b32_e32 v11, 0, v8, vcc
	v_addc_co_u32_e64 v1, s[0:1], 0, v1, vcc
	v_add_f64 v[8:9], v[12:13], -v[10:11]
	v_add_f64 v[10:11], v[8:9], v[6:7]
	s_mov_b32 s0, 0x54442d18
	v_add_f64 v[8:9], v[10:11], -v[8:9]
	s_mov_b32 s1, 0x3ff921fb
	v_add_f64 v[6:7], v[6:7], -v[8:9]
	v_mul_f64 v[8:9], v[10:11], s[0:1]
	v_fma_f64 v[12:13], v[10:11], s[0:1], -v[8:9]
	s_mov_b32 s9, 0x3c91a626
	v_fmac_f64_e32 v[12:13], s[8:9], v[10:11]
	v_fmac_f64_e32 v[12:13], s[0:1], v[6:7]
	v_add_f64 v[6:7], v[8:9], v[12:13]
	v_add_f64 v[8:9], v[6:7], -v[8:9]
	v_add_f64 v[8:9], v[12:13], -v[8:9]
	s_andn2_saveexec_b64 s[0:1], s[6:7]
	s_cbranch_execz .LBB7_159
	s_branch .LBB7_158
.LBB7_157:
	s_andn2_saveexec_b64 s[0:1], s[6:7]
	s_cbranch_execz .LBB7_159
.LBB7_158:
	s_mov_b32 s6, 0x6dc9c883
	s_mov_b32 s7, 0x3fe45f30
	v_mul_f64 v[6:7], |v[4:5]|, s[6:7]
	s_mov_b32 s6, 0x54442d18
	v_rndne_f64_e32 v[10:11], v[6:7]
	s_mov_b32 s7, 0xbff921fb
	v_fma_f64 v[6:7], v[10:11], s[6:7], |v[4:5]|
	s_mov_b32 s7, 0xbc91a626
	s_mov_b32 s6, 0x33145c00
	v_mul_f64 v[12:13], v[10:11], s[6:7]
	v_add_f64 v[16:17], v[6:7], v[12:13]
	v_fma_f64 v[8:9], s[6:7], v[10:11], v[6:7]
	s_mov_b32 s7, 0x3c91a626
	v_add_f64 v[6:7], v[6:7], -v[16:17]
	v_fma_f64 v[14:15], s[6:7], v[10:11], v[12:13]
	v_add_f64 v[6:7], v[6:7], v[12:13]
	v_add_f64 v[12:13], v[16:17], -v[8:9]
	v_add_f64 v[6:7], v[12:13], v[6:7]
	s_mov_b32 s6, 0x252049c0
	v_add_f64 v[12:13], v[6:7], -v[14:15]
	s_mov_b32 s7, 0xb97b839a
	v_fmac_f64_e32 v[12:13], s[6:7], v[10:11]
	v_add_f64 v[6:7], v[8:9], v[12:13]
	v_add_f64 v[8:9], v[6:7], -v[8:9]
	v_add_f64 v[8:9], v[12:13], -v[8:9]
	v_cvt_i32_f64_e32 v1, v[10:11]
.LBB7_159:
	s_or_b64 exec, exec, s[0:1]
                                        ; implicit-def: $vgpr23
                                        ; implicit-def: $vgpr10_vgpr11
                                        ; implicit-def: $vgpr12_vgpr13
	s_and_saveexec_b64 s[0:1], s[4:5]
	s_xor_b64 s[4:5], exec, s[0:1]
	s_cbranch_execz .LBB7_161
; %bb.160:
	s_mov_b32 s0, 0
	s_mov_b32 s1, 0x7b000000
	s_movk_i32 s6, 0xff80
	v_and_b32_e32 v16, 0x7fffffff, v5
	v_ldexp_f64 v[14:15], |v[4:5]|, s6
	v_cmp_ge_f64_e64 vcc, |v[4:5]|, s[0:1]
	v_trig_preop_f64 v[10:11], |v[4:5]|, 0
	v_trig_preop_f64 v[12:13], |v[4:5]|, 1
	v_cndmask_b32_e32 v15, v16, v15, vcc
	v_cndmask_b32_e32 v14, v4, v14, vcc
	v_mul_f64 v[18:19], v[10:11], v[14:15]
	v_mul_f64 v[16:17], v[12:13], v[14:15]
	v_fma_f64 v[10:11], v[10:11], v[14:15], -v[18:19]
	v_add_f64 v[20:21], v[16:17], v[10:11]
	v_add_f64 v[30:31], v[20:21], -v[16:17]
	v_add_f64 v[10:11], v[10:11], -v[30:31]
	;; [unrolled: 1-line block ×4, first 2 shown]
	v_fma_f64 v[12:13], v[12:13], v[14:15], -v[16:17]
	v_trig_preop_f64 v[16:17], |v[4:5]|, 2
	v_add_f64 v[10:11], v[10:11], v[30:31]
	v_mul_f64 v[30:31], v[16:17], v[14:15]
	v_add_f64 v[32:33], v[30:31], v[12:13]
	v_add_f64 v[24:25], v[18:19], v[20:21]
	;; [unrolled: 1-line block ×3, first 2 shown]
	v_ldexp_f64 v[26:27], v[24:25], -2
	v_add_f64 v[18:19], v[24:25], -v[18:19]
	v_add_f64 v[24:25], v[34:35], -v[32:33]
	;; [unrolled: 1-line block ×5, first 2 shown]
	v_add_f64 v[10:11], v[10:11], v[24:25]
	v_add_f64 v[24:25], v[32:33], -v[30:31]
	v_add_f64 v[12:13], v[12:13], -v[24:25]
	;; [unrolled: 1-line block ×4, first 2 shown]
	v_add_f64 v[12:13], v[12:13], v[24:25]
	s_mov_b32 s0, 0
	v_fract_f64_e32 v[28:29], v[26:27]
	v_add_f64 v[10:11], v[12:13], v[10:11]
	v_fma_f64 v[12:13], v[16:17], v[14:15], -v[30:31]
	s_mov_b32 s1, 0x7ff00000
	v_add_f64 v[18:19], v[20:21], -v[18:19]
	v_add_f64 v[10:11], v[12:13], v[10:11]
	v_ldexp_f64 v[12:13], v[28:29], 2
	v_cmp_neq_f64_e64 vcc, |v[26:27]|, s[0:1]
	v_add_f64 v[20:21], v[18:19], v[34:35]
	v_mov_b32_e32 v16, 0x40100000
	v_cndmask_b32_e32 v13, 0, v13, vcc
	v_cndmask_b32_e32 v12, 0, v12, vcc
	v_add_f64 v[14:15], v[20:21], v[12:13]
	v_cmp_gt_f64_e32 vcc, 0, v[14:15]
	v_mov_b32_e32 v14, 0
	v_add_f64 v[18:19], v[20:21], -v[18:19]
	v_cndmask_b32_e32 v15, 0, v16, vcc
	v_add_f64 v[12:13], v[12:13], v[14:15]
	v_add_f64 v[16:17], v[20:21], v[12:13]
	v_cvt_i32_f64_e32 v15, v[16:17]
	v_cvt_f64_i32_e32 v[16:17], v15
	v_add_f64 v[12:13], v[12:13], -v[16:17]
	v_add_f64 v[16:17], v[20:21], v[12:13]
	v_add_f64 v[18:19], v[34:35], -v[18:19]
	v_add_f64 v[12:13], v[16:17], -v[12:13]
	v_add_f64 v[10:11], v[18:19], v[10:11]
	v_add_f64 v[12:13], v[20:21], -v[12:13]
	v_add_f64 v[10:11], v[10:11], v[12:13]
	v_cmp_le_f64_e32 vcc, 0.5, v[16:17]
	v_mov_b32_e32 v12, 0x3ff00000
	s_mov_b32 s6, 0x33145c07
	v_addc_co_u32_e64 v23, s[0:1], 0, v15, vcc
	v_cndmask_b32_e32 v15, 0, v12, vcc
	v_add_f64 v[12:13], v[16:17], -v[14:15]
	v_add_f64 v[14:15], v[12:13], v[10:11]
	s_mov_b32 s0, 0x54442d18
	v_add_f64 v[12:13], v[14:15], -v[12:13]
	s_mov_b32 s1, 0x3ff921fb
	v_add_f64 v[10:11], v[10:11], -v[12:13]
	v_mul_f64 v[12:13], v[14:15], s[0:1]
	v_fma_f64 v[16:17], v[14:15], s[0:1], -v[12:13]
	s_mov_b32 s7, 0x3c91a626
	v_fmac_f64_e32 v[16:17], s[6:7], v[14:15]
	v_fmac_f64_e32 v[16:17], s[0:1], v[10:11]
	v_add_f64 v[10:11], v[12:13], v[16:17]
	v_add_f64 v[12:13], v[10:11], -v[12:13]
	v_add_f64 v[12:13], v[16:17], -v[12:13]
	s_andn2_saveexec_b64 s[0:1], s[4:5]
	s_cbranch_execnz .LBB7_162
	s_branch .LBB7_163
.LBB7_161:
	s_andn2_saveexec_b64 s[0:1], s[4:5]
	s_cbranch_execz .LBB7_163
.LBB7_162:
	s_mov_b32 s4, 0x6dc9c883
	s_mov_b32 s5, 0x3fe45f30
	v_mul_f64 v[10:11], |v[4:5]|, s[4:5]
	s_mov_b32 s4, 0x54442d18
	v_rndne_f64_e32 v[14:15], v[10:11]
	s_mov_b32 s5, 0xbff921fb
	v_fma_f64 v[10:11], v[14:15], s[4:5], |v[4:5]|
	s_mov_b32 s5, 0xbc91a626
	s_mov_b32 s4, 0x33145c00
	v_mul_f64 v[16:17], v[14:15], s[4:5]
	v_add_f64 v[20:21], v[10:11], v[16:17]
	v_fma_f64 v[12:13], s[4:5], v[14:15], v[10:11]
	s_mov_b32 s5, 0x3c91a626
	v_add_f64 v[10:11], v[10:11], -v[20:21]
	v_fma_f64 v[18:19], s[4:5], v[14:15], v[16:17]
	v_add_f64 v[10:11], v[10:11], v[16:17]
	v_add_f64 v[16:17], v[20:21], -v[12:13]
	v_add_f64 v[10:11], v[16:17], v[10:11]
	s_mov_b32 s4, 0x252049c0
	v_add_f64 v[16:17], v[10:11], -v[18:19]
	s_mov_b32 s5, 0xb97b839a
	v_fmac_f64_e32 v[16:17], s[4:5], v[14:15]
	v_add_f64 v[10:11], v[12:13], v[16:17]
	v_add_f64 v[12:13], v[10:11], -v[12:13]
	v_add_f64 v[12:13], v[16:17], -v[12:13]
	v_cvt_i32_f64_e32 v23, v[14:15]
.LBB7_163:
	s_or_b64 exec, exec, s[0:1]
	s_mov_b32 s0, 0
	s_mov_b32 s1, 0x40140000
	v_div_scale_f64 v[14:15], s[4:5], v[2:3], v[2:3], s[0:1]
	v_rcp_f64_e32 v[16:17], v[14:15]
	v_mov_b32_e32 v24, 0x5948aa83
	v_mov_b32_e32 v25, 0x3fb19fdd
	;; [unrolled: 1-line block ×3, first 2 shown]
	v_fma_f64 v[18:19], -v[14:15], v[16:17], 1.0
	v_fmac_f64_e32 v[16:17], v[16:17], v[18:19]
	v_fma_f64 v[18:19], -v[14:15], v[16:17], 1.0
	v_fmac_f64_e32 v[16:17], v[16:17], v[18:19]
	v_div_scale_f64 v[18:19], vcc, s[0:1], v[2:3], s[0:1]
	v_mul_f64 v[20:21], v[18:19], v[16:17]
	v_fma_f64 v[14:15], -v[14:15], v[20:21], v[18:19]
	v_mov_b32_e32 v27, 0x4013edb5
	s_nop 0
	v_div_fmas_f64 v[14:15], v[14:15], v[16:17], v[20:21]
	v_div_fixup_f64 v[14:15], v[14:15], v[2:3], s[0:1]
	v_mul_f64 v[18:19], v[14:15], v[14:15]
	v_mov_b32_e32 v16, 0x4c6c651b
	v_mov_b32_e32 v17, 0x3f48f92c
	v_fmac_f64_e32 v[16:17], 0, v[18:19]
	v_mov_b32_e32 v20, 0xa3fec4b6
	v_mov_b32_e32 v21, 0x3fb2b948
	v_fmac_f64_e32 v[20:21], v[18:19], v[16:17]
	;; [unrolled: 3-line block ×7, first 2 shown]
	v_fmac_f64_e32 v[24:25], v[18:19], v[16:17]
	v_mov_b32_e32 v16, 0xb850eed6
	v_mov_b32_e32 v17, 0x3ff1aea9
	v_fmac_f64_e32 v[16:17], v[18:19], v[24:25]
	v_mov_b32_e32 v24, 0xf7d251a1
	v_mov_b32_e32 v25, 0x40144ba2
	;; [unrolled: 3-line block ×5, first 2 shown]
	v_fmac_f64_e32 v[16:17], 0, v[18:19]
	v_fmac_f64_e32 v[26:27], v[18:19], v[16:17]
	v_mov_b32_e32 v16, 0x9acf1c67
	v_mov_b32_e32 v17, 0x4052f4b9
	v_fmac_f64_e32 v[16:17], v[18:19], v[26:27]
	v_mov_b32_e32 v26, 0x47aa180d
	v_mov_b32_e32 v27, 0x4076ec79
	;; [unrolled: 3-line block ×6, first 2 shown]
	v_mov_b32_e32 v26, 0x60895077
	v_mov_b32_e32 v27, 0x40528f30
	v_fmac_f64_e32 v[16:17], v[18:19], v[28:29]
	v_fmac_f64_e32 v[26:27], 0, v[18:19]
	v_mov_b32_e32 v28, 0xa20e5f6f
	v_mov_b32_e32 v29, 0x409081cb
	v_fmac_f64_e32 v[28:29], v[18:19], v[26:27]
	v_mov_b32_e32 v26, 0x1bfdfe81
	v_mov_b32_e32 v27, 0x40b37a69
	v_fmac_f64_e32 v[26:27], v[18:19], v[28:29]
	v_mov_b32_e32 v28, 0xd280d118
	v_mov_b32_e32 v29, 0x40c2ad28
	v_fmac_f64_e32 v[28:29], v[18:19], v[26:27]
	v_mov_b32_e32 v26, 0xa6973d14
	v_mov_b32_e32 v27, 0x40bf3d0a
	v_fmac_f64_e32 v[26:27], v[18:19], v[28:29]
	v_mov_b32_e32 v28, 0xb4bd1781
	v_mov_b32_e32 v29, 0x40a61462
	v_fma_f64 v[24:25], v[18:19], v[24:25], 1.0
	v_fmac_f64_e32 v[28:29], v[18:19], v[26:27]
	v_fma_f64 v[26:27], v[18:19], v[20:21], 1.0
	v_div_scale_f64 v[30:31], s[0:1], v[24:25], v[24:25], v[26:27]
	v_rcp_f64_e32 v[32:33], v[30:31]
	v_mov_b32_e32 v20, 0x6ae75997
	v_mov_b32_e32 v21, 0x4075017f
	v_fmac_f64_e32 v[20:21], v[18:19], v[28:29]
	v_fma_f64 v[18:19], -v[30:31], v[32:33], 1.0
	v_fmac_f64_e32 v[32:33], v[32:33], v[18:19]
	v_fma_f64 v[18:19], -v[30:31], v[32:33], 1.0
	v_fmac_f64_e32 v[32:33], v[32:33], v[18:19]
	v_div_scale_f64 v[18:19], vcc, v[26:27], v[24:25], v[26:27]
	v_mul_f64 v[28:29], v[18:19], v[32:33]
	v_fma_f64 v[18:19], -v[30:31], v[28:29], v[18:19]
	s_mov_b32 s0, 0x9037ab78
	s_nop 0
	v_div_fmas_f64 v[18:19], v[18:19], v[32:33], v[28:29]
	s_mov_b32 s1, 0x3e21eeb6
	s_mov_b32 s4, 0x46cc5e42
	v_div_fixup_f64 v[18:19], v[18:19], v[24:25], v[26:27]
	v_mul_f64 v[24:25], v[6:7], v[6:7]
	s_mov_b32 s5, 0xbda907db
	v_mov_b64_e32 v[32:33], s[0:1]
	s_mov_b32 s6, 0xa17f65f6
	v_mul_f64 v[26:27], v[24:25], 0.5
	v_fma_f64 v[34:35], s[4:5], v[24:25], v[32:33]
	s_mov_b32 s7, 0xbe927e4f
	s_mov_b32 s8, 0x19f4ec90
	v_add_f64 v[28:29], -v[26:27], 1.0
	v_fma_f64 v[34:35], v[24:25], v[34:35], s[6:7]
	s_mov_b32 s9, 0x3efa01a0
	s_mov_b32 s10, 0x16c16967
	v_add_f64 v[30:31], -v[28:29], 1.0
	v_fma_f64 v[34:35], v[24:25], v[34:35], s[8:9]
	s_mov_b32 s11, 0xbf56c16c
	s_mov_b32 s12, 0x55555555
	v_add_f64 v[26:27], v[30:31], -v[26:27]
	v_fma_f64 v[34:35], v[24:25], v[34:35], s[10:11]
	s_mov_b32 s13, 0x3fa55555
	v_mul_f64 v[30:31], v[24:25], v[24:25]
	v_fma_f64 v[34:35], v[24:25], v[34:35], s[12:13]
	v_fma_f64 v[26:27], v[6:7], -v[8:9], v[26:27]
	s_mov_b32 s0, 0xb42fdfa7
	v_fmac_f64_e32 v[26:27], v[30:31], v[34:35]
	s_mov_b32 s1, 0xbe5ae600
	s_mov_b32 s14, 0xf9a43bb8
	v_add_f64 v[26:27], v[28:29], v[26:27]
	s_mov_b32 s15, 0x3de5e0b2
	v_mov_b64_e32 v[28:29], s[0:1]
	s_mov_b32 s28, 0x796cde01
	v_fma_f64 v[30:31], s[14:15], v[24:25], v[28:29]
	s_mov_b32 s29, 0x3ec71de3
	s_mov_b32 s30, 0x19e83e5c
	v_fma_f64 v[30:31], v[24:25], v[30:31], s[28:29]
	s_mov_b32 s31, 0xbf2a01a0
	;; [unrolled: 3-line block ×3, first 2 shown]
	v_fma_f64 v[30:31], v[24:25], v[30:31], s[50:51]
	v_mul_f64 v[34:35], v[6:7], -v[24:25]
	v_mul_f64 v[36:37], v[8:9], 0.5
	v_fmac_f64_e32 v[36:37], v[34:35], v[30:31]
	v_fma_f64 v[8:9], v[24:25], v[36:37], -v[8:9]
	s_mov_b32 s53, 0xbfc55555
	s_mov_b32 s52, s12
	v_fmac_f64_e32 v[8:9], s[52:53], v[34:35]
	v_add_f64 v[6:7], v[6:7], -v[8:9]
	v_and_b32_e32 v8, 1, v1
	v_cmp_eq_u32_e32 vcc, 0, v8
	v_lshlrev_b32_e32 v1, 30, v1
	v_xor_b32_e32 v1, v1, v5
	v_cndmask_b32_e32 v24, v26, v6, vcc
	v_cndmask_b32_e32 v6, v27, v7, vcc
	s_brev_b32 s57, 1
	v_bitop3_b32 v1, v6, v1, s57 bitop3:0x78
	v_div_scale_f64 v[6:7], s[0:1], v[20:21], v[20:21], v[16:17]
	v_rcp_f64_e32 v[8:9], v[6:7]
	s_movk_i32 s58, 0x1f8
	v_cmp_class_f64_e64 s[0:1], v[4:5], s58
	v_mov_b32_e32 v30, 0x7ff80000
	s_nop 0
	v_cndmask_b32_e64 v4, 0, v24, s[0:1]
	v_fma_f64 v[24:25], -v[6:7], v[8:9], 1.0
	v_fmac_f64_e32 v[8:9], v[8:9], v[24:25]
	v_fma_f64 v[24:25], -v[6:7], v[8:9], 1.0
	v_fmac_f64_e32 v[8:9], v[8:9], v[24:25]
	v_div_scale_f64 v[24:25], vcc, v[16:17], v[20:21], v[16:17]
	v_mul_f64 v[26:27], v[24:25], v[8:9]
	v_fma_f64 v[6:7], -v[6:7], v[26:27], v[24:25]
	v_cndmask_b32_e64 v5, v30, v1, s[0:1]
	s_nop 0
	v_div_fmas_f64 v[6:7], v[6:7], v[8:9], v[26:27]
	v_div_fixup_f64 v[6:7], v[6:7], v[20:21], v[16:17]
	v_mul_f64 v[8:9], v[10:11], v[10:11]
	v_mul_f64 v[6:7], v[14:15], v[6:7]
	v_mul_f64 v[14:15], v[8:9], 0.5
	v_fmac_f64_e32 v[32:33], s[4:5], v[8:9]
	v_add_f64 v[16:17], -v[14:15], 1.0
	v_fma_f64 v[24:25], v[8:9], v[32:33], s[6:7]
	v_add_f64 v[20:21], -v[16:17], 1.0
	v_fma_f64 v[24:25], v[8:9], v[24:25], s[8:9]
	v_add_f64 v[14:15], v[20:21], -v[14:15]
	v_fma_f64 v[24:25], v[8:9], v[24:25], s[10:11]
	v_mul_f64 v[20:21], v[8:9], v[8:9]
	v_fma_f64 v[24:25], v[8:9], v[24:25], s[12:13]
	v_fma_f64 v[14:15], v[10:11], -v[12:13], v[14:15]
	v_fmac_f64_e32 v[14:15], v[20:21], v[24:25]
	v_fmac_f64_e32 v[28:29], s[14:15], v[8:9]
	v_add_f64 v[14:15], v[16:17], v[14:15]
	v_fma_f64 v[16:17], v[8:9], v[28:29], s[28:29]
	v_fma_f64 v[16:17], v[8:9], v[16:17], s[30:31]
	;; [unrolled: 1-line block ×3, first 2 shown]
	v_mul_f64 v[20:21], v[10:11], -v[8:9]
	v_mul_f64 v[24:25], v[12:13], 0.5
	v_fmac_f64_e32 v[24:25], v[20:21], v[16:17]
	v_fma_f64 v[8:9], v[8:9], v[24:25], -v[12:13]
	v_fmac_f64_e32 v[8:9], s[52:53], v[20:21]
	v_add_f64 v[8:9], v[10:11], -v[8:9]
	v_xor_b32_e32 v1, 0x80000000, v9
	v_and_b32_e32 v9, 1, v23
	v_cmp_eq_u32_e32 vcc, 0, v9
	v_lshlrev_b32_e32 v9, 30, v23
	s_nop 0
	v_cndmask_b32_e32 v1, v1, v15, vcc
	v_cndmask_b32_e32 v8, v8, v14, vcc
	v_bitop3_b32 v1, v1, v9, s57 bitop3:0x78
	v_cndmask_b32_e64 v8, 0, v8, s[0:1]
	v_cndmask_b32_e64 v9, v30, v1, s[0:1]
	s_mov_b32 s0, 0
	s_brev_b32 s1, 8
	v_mov_b32_e32 v1, 0x100
	v_cmp_gt_f64_e32 vcc, s[0:1], v[2:3]
	v_mul_f64 v[6:7], v[6:7], v[8:9]
	v_fmac_f64_e32 v[6:7], v[18:19], v[4:5]
	v_cndmask_b32_e32 v1, 0, v1, vcc
	v_ldexp_f64 v[2:3], v[2:3], v1
	v_rsq_f64_e32 v[4:5], v[2:3]
	v_mov_b32_e32 v1, 0xffffff80
	v_cndmask_b32_e32 v1, 0, v1, vcc
	s_mov_b32 s0, 0x33d43651
	v_mul_f64 v[8:9], v[2:3], v[4:5]
	v_mul_f64 v[4:5], v[4:5], 0.5
	v_fma_f64 v[10:11], -v[4:5], v[8:9], 0.5
	v_fmac_f64_e32 v[8:9], v[8:9], v[10:11]
	v_fma_f64 v[12:13], -v[8:9], v[8:9], v[2:3]
	v_fmac_f64_e32 v[4:5], v[4:5], v[10:11]
	v_fmac_f64_e32 v[8:9], v[12:13], v[4:5]
	v_fma_f64 v[10:11], -v[8:9], v[8:9], v[2:3]
	v_fmac_f64_e32 v[8:9], v[10:11], v[4:5]
	v_ldexp_f64 v[4:5], v[8:9], v1
	v_mov_b32_e32 v1, 0x260
	s_mov_b32 s1, 0x3fe98845
	v_cmp_class_f64_e32 vcc, v[2:3], v1
	v_mul_f64 v[6:7], v[6:7], s[0:1]
	s_nop 0
	v_cndmask_b32_e32 v3, v5, v3, vcc
	v_cndmask_b32_e32 v2, v4, v2, vcc
	v_div_scale_f64 v[4:5], s[0:1], v[2:3], v[2:3], v[6:7]
	v_rcp_f64_e32 v[8:9], v[4:5]
	s_nop 0
	v_fma_f64 v[10:11], -v[4:5], v[8:9], 1.0
	v_fmac_f64_e32 v[8:9], v[8:9], v[10:11]
	v_fma_f64 v[10:11], -v[4:5], v[8:9], 1.0
	v_fmac_f64_e32 v[8:9], v[8:9], v[10:11]
	v_div_scale_f64 v[10:11], vcc, v[6:7], v[2:3], v[6:7]
	v_mul_f64 v[12:13], v[10:11], v[8:9]
	v_fma_f64 v[4:5], -v[4:5], v[12:13], v[10:11]
	s_nop 1
	v_div_fmas_f64 v[4:5], v[4:5], v[8:9], v[12:13]
	v_div_fixup_f64 v[6:7], v[4:5], v[2:3], v[6:7]
.LBB7_164:
	s_or_b64 exec, exec, s[2:3]
	v_add_u32_e32 v22, 0x80, v22
	global_store_dwordx2 v0, v[6:7], s[16:17]
	s_or_b64 exec, exec, s[48:49]
	v_cmp_gt_i32_e32 vcc, s55, v22
	s_and_saveexec_b64 s[48:49], vcc
	s_cbranch_execnz .LBB7_16
.LBB7_165:
	s_or_b64 exec, exec, s[48:49]
	v_cmp_gt_i32_e32 vcc, s55, v22
	s_and_saveexec_b64 s[48:49], vcc
	s_cbranch_execz .LBB7_198
.LBB7_166:
	s_andn2_b64 vcc, exec, s[36:37]
	s_cbranch_vccnz .LBB7_172
; %bb.167:
	s_andn2_b64 vcc, exec, s[46:47]
	s_cbranch_vccnz .LBB7_173
; %bb.168:
	s_add_i32 s58, s56, 1
	s_cmp_eq_u32 s54, 2
	s_cbranch_scc1 .LBB7_201
; %bb.169:
	s_and_b32 s57, s58, 28
	s_mov_b32 s59, 0
	v_mov_b32_e32 v0, 0
	v_mov_b32_e32 v2, 0
	s_mov_b64 s[50:51], s[34:35]
	s_mov_b64 s[52:53], s[44:45]
	v_mov_b32_e32 v4, v22
.LBB7_170:                              ; =>This Inner Loop Header: Depth=1
	s_load_dwordx8 s[8:15], s[50:51], 0x4
	s_load_dwordx4 s[28:31], s[50:51], 0x24
	s_load_dwordx8 s[0:7], s[52:53], 0x0
	s_add_u32 s50, s50, 48
	s_addc_u32 s51, s51, 0
	s_waitcnt lgkmcnt(0)
	v_mul_hi_u32 v1, s9, v4
	v_add_u32_e32 v1, v4, v1
	v_lshrrev_b32_e32 v1, s10, v1
	v_mul_lo_u32 v3, v1, s8
	v_mul_hi_u32 v5, s12, v1
	v_sub_u32_e32 v3, v4, v3
	v_add_u32_e32 v4, v1, v5
	v_lshrrev_b32_e32 v4, s13, v4
	v_mul_lo_u32 v6, v4, s11
	v_mul_hi_u32 v7, s15, v4
	v_sub_u32_e32 v1, v1, v6
	v_add_u32_e32 v6, v4, v7
	v_mul_lo_u32 v5, v3, s1
	v_mul_lo_u32 v3, v3, s0
	;; [unrolled: 1-line block ×4, first 2 shown]
	v_lshrrev_b32_e32 v6, s28, v6
	v_add3_u32 v0, v3, v0, v1
	v_mul_hi_u32 v3, s30, v6
	v_add3_u32 v1, v5, v2, v7
	v_mul_lo_u32 v2, v6, s14
	v_add_u32_e32 v3, v6, v3
	v_sub_u32_e32 v2, v4, v2
	v_lshrrev_b32_e32 v4, s31, v3
	s_add_i32 s59, s59, 4
	v_mul_lo_u32 v3, v4, s29
	s_add_u32 s52, s52, 32
	v_sub_u32_e32 v3, v6, v3
	s_addc_u32 s53, s53, 0
	v_mul_lo_u32 v5, v2, s4
	v_mul_lo_u32 v2, v2, s5
	v_mul_lo_u32 v6, v3, s6
	v_mul_lo_u32 v3, v3, s7
	s_cmp_eq_u32 s57, s59
	v_add3_u32 v2, v2, v1, v3
	v_add3_u32 v0, v5, v0, v6
	s_cbranch_scc0 .LBB7_170
; %bb.171:
	v_mov_b32_e32 v1, v2
	s_branch .LBB7_202
.LBB7_172:
                                        ; implicit-def: $vgpr2
                                        ; implicit-def: $vgpr0
	s_branch .LBB7_206
.LBB7_173:
	v_mov_b32_e32 v2, 0
	v_mov_b32_e32 v0, 0
	s_branch .LBB7_205
.LBB7_174:
	v_mov_b32_e32 v0, 0
	s_mov_b32 s57, 0
	v_mov_b32_e32 v1, v0
                                        ; implicit-def: $vgpr2
	v_mov_b32_e32 v4, v22
.LBB7_175:
	s_and_b32 s4, s58, 3
	s_cmp_eq_u32 s4, 0
	s_cbranch_scc1 .LBB7_178
; %bb.176:
	s_lshl_b32 s0, s57, 3
	s_add_u32 s0, s34, s0
	s_addc_u32 s1, s35, 0
	s_add_u32 s0, s0, 0xc4
	s_addc_u32 s1, s1, 0
	s_mul_i32 s2, s57, 12
	s_add_u32 s2, s34, s2
	s_addc_u32 s3, s35, 0
.LBB7_177:                              ; =>This Inner Loop Header: Depth=1
	s_load_dwordx2 s[6:7], s[2:3], 0x4
	s_load_dword s5, s[2:3], 0xc
	s_load_dwordx2 s[8:9], s[0:1], 0x0
	v_mov_b32_e32 v2, v1
	s_add_u32 s2, s2, 12
	s_waitcnt lgkmcnt(0)
	v_mul_hi_u32 v1, s7, v4
	v_add_u32_e32 v1, v4, v1
	v_lshrrev_b32_e32 v1, s5, v1
	s_addc_u32 s3, s3, 0
	v_mul_lo_u32 v3, v1, s6
	s_add_u32 s0, s0, 8
	v_sub_u32_e32 v5, v4, v3
	s_addc_u32 s1, s1, 0
	s_add_i32 s4, s4, -1
	v_mov_b32_e32 v4, v1
	v_mad_u64_u32 v[2:3], s[6:7], v5, s9, v[2:3]
	v_mad_u64_u32 v[0:1], s[6:7], v5, s8, v[0:1]
	s_cmp_lg_u32 s4, 0
	v_mov_b32_e32 v1, v2
	s_cbranch_scc1 .LBB7_177
.LBB7_178:
	s_cbranch_execnz .LBB7_181
.LBB7_179:
	s_waitcnt lgkmcnt(0)
	v_mul_hi_u32 v0, s25, v22
	v_add_u32_e32 v0, v22, v0
	v_lshrrev_b32_e32 v1, s26, v0
	v_mul_lo_u32 v0, v1, s24
	v_sub_u32_e32 v0, v22, v0
	v_mul_lo_u32 v2, v0, s21
	s_andn2_b64 vcc, exec, s[42:43]
	v_mul_lo_u32 v0, v0, s20
	s_cbranch_vccnz .LBB7_181
; %bb.180:
	v_mul_hi_u32 v3, s40, v1
	v_add_u32_e32 v3, v1, v3
	v_lshrrev_b32_e32 v3, s41, v3
	v_mul_lo_u32 v3, v3, s27
	v_sub_u32_e32 v3, v1, v3
	v_mad_u64_u32 v[0:1], s[0:1], v3, s22, v[0:1]
	v_mad_u64_u32 v[2:3], s[0:1], v3, s23, v[2:3]
.LBB7_181:
	s_waitcnt lgkmcnt(0)
	global_load_dwordx2 v[2:3], v2, s[18:19]
	s_mov_b32 s0, 0
	s_mov_b32 s1, 0x40140000
                                        ; implicit-def: $vgpr6_vgpr7
	s_waitcnt vmcnt(0)
	v_cmp_ge_f64_e32 vcc, s[0:1], v[2:3]
	s_and_saveexec_b64 s[0:1], vcc
	s_xor_b64 s[0:1], exec, s[0:1]
	s_cbranch_execz .LBB7_187
; %bb.182:
	v_mov_b32_e32 v6, 0
	v_cmp_neq_f64_e32 vcc, 0, v[2:3]
	v_mov_b32_e32 v7, 0xfff00000
	s_and_saveexec_b64 s[2:3], vcc
	s_cbranch_execz .LBB7_186
; %bb.183:
	v_mov_b32_e32 v6, 0
	v_cmp_nge_f64_e32 vcc, 0, v[2:3]
	v_mov_b32_e32 v7, 0x7ff80000
	s_and_saveexec_b64 s[4:5], vcc
	s_cbranch_execz .LBB7_185
; %bb.184:
	v_mul_f64 v[4:5], v[2:3], v[2:3]
	v_mov_b32_e32 v6, 0x62f9b6c5
	v_mov_b32_e32 v7, 0x41d2d2be
	v_fmac_f64_e32 v[6:7], 0, v[4:5]
	v_mov_b32_e32 v8, 0x58836521
	v_mov_b32_e32 v9, 0xc262d72d
	v_fmac_f64_e32 v[8:9], v[4:5], v[6:7]
	;; [unrolled: 3-line block ×14, first 2 shown]
	v_div_scale_f64 v[6:7], s[6:7], v[10:11], v[10:11], v[8:9]
	v_rcp_f64_e32 v[12:13], v[6:7]
	v_mov_b32_e32 v18, 0xd438c6b
	v_mov_b32_e32 v19, 0x425a52ba
	;; [unrolled: 1-line block ×3, first 2 shown]
	v_fma_f64 v[14:15], -v[6:7], v[12:13], 1.0
	v_fmac_f64_e32 v[12:13], v[12:13], v[14:15]
	v_fma_f64 v[14:15], -v[6:7], v[12:13], 1.0
	v_fmac_f64_e32 v[12:13], v[12:13], v[14:15]
	v_div_scale_f64 v[14:15], vcc, v[8:9], v[10:11], v[8:9]
	v_mul_f64 v[16:17], v[14:15], v[12:13]
	v_fma_f64 v[6:7], -v[6:7], v[16:17], v[14:15]
	v_mov_b32_e32 v14, 0x4cda4fc5
	v_mov_b32_e32 v15, 0xc1cad23c
	v_fmac_f64_e32 v[14:15], 0, v[4:5]
	v_fmac_f64_e32 v[18:19], v[4:5], v[14:15]
	v_mov_b32_e32 v14, 0xe6ccf175
	v_mov_b32_e32 v15, 0xc2d08a92
	v_fmac_f64_e32 v[14:15], v[4:5], v[18:19]
	v_mov_b32_e32 v18, 0x1b7086e7
	v_mov_b32_e32 v19, 0x408366b1
	v_fmac_f64_e32 v[18:19], 0, v[4:5]
	v_mov_b32_e32 v21, 0x410f5eda
	v_fmac_f64_e32 v[20:21], v[4:5], v[18:19]
	v_mov_b32_e32 v18, 0xdc92a1b1
	v_mov_b32_e32 v19, 0x4193e954
	v_fmac_f64_e32 v[18:19], v[4:5], v[20:21]
	v_mov_b32_e32 v20, 0x7befeac1
	;; [unrolled: 3-line block ×7, first 2 shown]
	v_mov_b32_e32 v19, 0x432a2b42
	v_fmac_f64_e32 v[18:19], v[4:5], v[14:15]
	v_div_scale_f64 v[14:15], s[6:7], v[20:21], v[20:21], v[18:19]
	v_rcp_f64_e32 v[24:25], v[14:15]
	v_div_fmas_f64 v[4:5], v[6:7], v[12:13], v[16:17]
	v_div_fixup_f64 v[4:5], v[4:5], v[10:11], v[8:9]
	s_mov_b32 s6, 0x55555555
	v_fma_f64 v[6:7], -v[14:15], v[24:25], 1.0
	v_fmac_f64_e32 v[24:25], v[24:25], v[6:7]
	v_fma_f64 v[6:7], -v[14:15], v[24:25], 1.0
	v_fmac_f64_e32 v[24:25], v[24:25], v[6:7]
	v_div_scale_f64 v[6:7], vcc, v[18:19], v[20:21], v[18:19]
	v_mul_f64 v[8:9], v[6:7], v[24:25]
	v_fma_f64 v[6:7], -v[14:15], v[8:9], v[6:7]
	s_mov_b32 s7, 0x3fe55555
	s_nop 0
	v_div_fmas_f64 v[6:7], v[6:7], v[24:25], v[8:9]
	v_div_fixup_f64 v[6:7], v[6:7], v[20:21], v[18:19]
	v_mov_b32_e32 v8, 0x4189822c
	v_mov_b32_e32 v9, 0xc02d5d2b
	v_mul_f64 v[6:7], v[2:3], v[6:7]
	v_fmac_f64_e32 v[8:9], v[2:3], v[2:3]
	v_mul_f64 v[6:7], v[8:9], v[6:7]
	v_mov_b32_e32 v8, 0x6072a432
	v_mov_b32_e32 v9, 0xc0489bf6
	v_fmac_f64_e32 v[8:9], v[2:3], v[2:3]
	v_mul_f64 v[6:7], v[8:9], v[6:7]
	v_frexp_mant_f64_e32 v[8:9], v[2:3]
	v_cmp_gt_f64_e32 vcc, s[6:7], v[8:9]
	s_mov_b32 s6, 0xbf559e2b
	s_mov_b32 s7, 0x3fc3ab76
	v_cndmask_b32_e64 v10, 0, 1, vcc
	v_ldexp_f64 v[8:9], v[8:9], v10
	v_add_f64 v[10:11], v[8:9], 1.0
	v_rcp_f64_e32 v[12:13], v[10:11]
	v_add_f64 v[16:17], v[10:11], -1.0
	v_add_f64 v[14:15], v[8:9], -1.0
	v_add_f64 v[8:9], v[8:9], -v[16:17]
	v_fma_f64 v[16:17], -v[10:11], v[12:13], 1.0
	v_fmac_f64_e32 v[12:13], v[16:17], v[12:13]
	v_fma_f64 v[16:17], -v[10:11], v[12:13], 1.0
	v_fmac_f64_e32 v[12:13], v[16:17], v[12:13]
	v_mul_f64 v[16:17], v[14:15], v[12:13]
	v_mul_f64 v[18:19], v[10:11], v[16:17]
	v_fma_f64 v[10:11], v[16:17], v[10:11], -v[18:19]
	v_fmac_f64_e32 v[10:11], v[16:17], v[8:9]
	v_add_f64 v[8:9], v[18:19], v[10:11]
	v_add_f64 v[20:21], v[14:15], -v[8:9]
	v_add_f64 v[18:19], v[8:9], -v[18:19]
	;; [unrolled: 1-line block ×5, first 2 shown]
	v_add_f64 v[8:9], v[10:11], v[8:9]
	v_add_f64 v[8:9], v[20:21], v[8:9]
	v_mul_f64 v[8:9], v[12:13], v[8:9]
	v_add_f64 v[10:11], v[16:17], v[8:9]
	v_add_f64 v[12:13], v[10:11], -v[16:17]
	v_add_f64 v[8:9], v[8:9], -v[12:13]
	v_mul_f64 v[12:13], v[10:11], v[10:11]
	v_mov_b32_e32 v14, 0x6b47b09a
	v_mov_b32_e32 v15, 0x3fc38538
	v_fmac_f64_e32 v[14:15], s[6:7], v[12:13]
	v_mov_b32_e32 v16, 0xd7f4df2e
	v_mov_b32_e32 v17, 0x3fc7474d
	v_fmac_f64_e32 v[16:17], v[12:13], v[14:15]
	;; [unrolled: 3-line block ×6, first 2 shown]
	v_ldexp_f64 v[14:15], v[10:11], 1
	v_mul_f64 v[10:11], v[10:11], v[12:13]
	v_mul_f64 v[10:11], v[10:11], v[16:17]
	v_add_f64 v[12:13], v[14:15], v[10:11]
	v_add_f64 v[14:15], v[12:13], -v[14:15]
	v_ldexp_f64 v[8:9], v[8:9], 1
	v_add_f64 v[10:11], v[10:11], -v[14:15]
	v_add_f64 v[8:9], v[8:9], v[10:11]
	v_frexp_exp_i32_f64_e32 v1, v[2:3]
	v_add_f64 v[10:11], v[12:13], v[8:9]
	v_subbrev_co_u32_e32 v1, vcc, 0, v1, vcc
	v_add_f64 v[12:13], v[10:11], -v[12:13]
	s_mov_b32 s6, 0xfefa39ef
	v_add_f64 v[8:9], v[8:9], -v[12:13]
	v_cvt_f64_i32_e32 v[12:13], v1
	s_mov_b32 s7, 0x3fe62e42
	v_mul_f64 v[14:15], v[12:13], s[6:7]
	v_fma_f64 v[16:17], v[12:13], s[6:7], -v[14:15]
	s_mov_b32 s6, 0x3b39803f
	s_mov_b32 s7, 0x3c7abc9e
	v_fmac_f64_e32 v[16:17], s[6:7], v[12:13]
	v_add_f64 v[12:13], v[14:15], v[16:17]
	v_add_f64 v[14:15], v[12:13], -v[14:15]
	v_add_f64 v[14:15], v[16:17], -v[14:15]
	v_add_f64 v[16:17], v[12:13], v[10:11]
	v_add_f64 v[18:19], v[16:17], -v[12:13]
	v_add_f64 v[20:21], v[16:17], -v[18:19]
	;; [unrolled: 1-line block ×4, first 2 shown]
	v_add_f64 v[10:11], v[10:11], v[12:13]
	v_add_f64 v[12:13], v[14:15], v[8:9]
	v_add_f64 v[18:19], v[12:13], -v[14:15]
	v_add_f64 v[20:21], v[12:13], -v[18:19]
	v_add_f64 v[10:11], v[12:13], v[10:11]
	v_add_f64 v[14:15], v[14:15], -v[20:21]
	v_add_f64 v[8:9], v[8:9], -v[18:19]
	v_add_f64 v[12:13], v[16:17], v[10:11]
	v_add_f64 v[8:9], v[8:9], v[14:15]
	v_add_f64 v[14:15], v[12:13], -v[16:17]
	v_div_scale_f64 v[16:17], s[6:7], v[2:3], v[2:3], -1.0
	v_rcp_f64_e32 v[18:19], v[16:17]
	v_add_f64 v[10:11], v[10:11], -v[14:15]
	v_add_f64 v[8:9], v[8:9], v[10:11]
	v_add_f64 v[8:9], v[12:13], v[8:9]
	v_fma_f64 v[10:11], -v[16:17], v[18:19], 1.0
	v_fmac_f64_e32 v[18:19], v[18:19], v[10:11]
	v_fma_f64 v[10:11], -v[16:17], v[18:19], 1.0
	v_fmac_f64_e32 v[18:19], v[18:19], v[10:11]
	v_div_scale_f64 v[10:11], vcc, -1.0, v[2:3], -1.0
	v_mul_f64 v[12:13], v[10:11], v[18:19]
	v_fma_f64 v[10:11], -v[16:17], v[12:13], v[10:11]
	s_mov_b32 s6, 0x6dc9c883
	s_nop 0
	v_div_fmas_f64 v[10:11], v[10:11], v[18:19], v[12:13]
	v_div_fixup_f64 v[10:11], v[10:11], v[2:3], -1.0
	v_fmac_f64_e32 v[10:11], v[6:7], v[8:9]
	s_mov_b32 s7, 0x3fe45f30
	v_mul_f64 v[6:7], v[10:11], s[6:7]
	v_fmac_f64_e32 v[6:7], v[2:3], v[4:5]
.LBB7_185:
	s_or_b64 exec, exec, s[4:5]
.LBB7_186:
	s_or_b64 exec, exec, s[2:3]
                                        ; implicit-def: $vgpr2_vgpr3
.LBB7_187:
	s_andn2_saveexec_b64 s[2:3], s[0:1]
	s_cbranch_execz .LBB7_197
; %bb.188:
	s_mov_b32 s0, 0x7f3321d2
	s_mov_b32 s1, 0xc002d97c
	v_add_f64 v[4:5], v[2:3], s[0:1]
	s_mov_b32 s0, 0
	s_mov_b32 s1, 0x41d00000
	v_cmp_nlt_f64_e64 s[4:5], |v[4:5]|, s[0:1]
                                        ; implicit-def: $vgpr1
                                        ; implicit-def: $vgpr6_vgpr7
                                        ; implicit-def: $vgpr8_vgpr9
	s_and_saveexec_b64 s[0:1], s[4:5]
	s_xor_b64 s[6:7], exec, s[0:1]
	s_cbranch_execz .LBB7_190
; %bb.189:
	s_mov_b32 s0, 0
	s_mov_b32 s1, 0x7b000000
	s_movk_i32 s8, 0xff80
	v_and_b32_e32 v1, 0x7fffffff, v5
	v_ldexp_f64 v[10:11], |v[4:5]|, s8
	v_cmp_ge_f64_e64 vcc, |v[4:5]|, s[0:1]
	v_trig_preop_f64 v[6:7], |v[4:5]|, 0
	v_trig_preop_f64 v[8:9], |v[4:5]|, 1
	v_cndmask_b32_e32 v11, v1, v11, vcc
	v_cndmask_b32_e32 v10, v4, v10, vcc
	v_mul_f64 v[14:15], v[6:7], v[10:11]
	v_mul_f64 v[12:13], v[8:9], v[10:11]
	v_fma_f64 v[6:7], v[6:7], v[10:11], -v[14:15]
	v_add_f64 v[16:17], v[12:13], v[6:7]
	v_add_f64 v[26:27], v[16:17], -v[12:13]
	v_add_f64 v[6:7], v[6:7], -v[26:27]
	;; [unrolled: 1-line block ×4, first 2 shown]
	v_fma_f64 v[8:9], v[8:9], v[10:11], -v[12:13]
	v_trig_preop_f64 v[12:13], |v[4:5]|, 2
	v_add_f64 v[6:7], v[6:7], v[26:27]
	v_mul_f64 v[26:27], v[12:13], v[10:11]
	v_add_f64 v[28:29], v[26:27], v[8:9]
	v_add_f64 v[18:19], v[14:15], v[16:17]
	;; [unrolled: 1-line block ×3, first 2 shown]
	v_ldexp_f64 v[20:21], v[18:19], -2
	v_add_f64 v[14:15], v[18:19], -v[14:15]
	v_add_f64 v[18:19], v[30:31], -v[28:29]
	;; [unrolled: 1-line block ×5, first 2 shown]
	v_add_f64 v[6:7], v[6:7], v[18:19]
	v_add_f64 v[18:19], v[28:29], -v[26:27]
	v_add_f64 v[8:9], v[8:9], -v[18:19]
	;; [unrolled: 1-line block ×4, first 2 shown]
	v_add_f64 v[8:9], v[8:9], v[18:19]
	s_mov_b32 s0, 0
	v_fract_f64_e32 v[24:25], v[20:21]
	v_add_f64 v[6:7], v[8:9], v[6:7]
	v_fma_f64 v[8:9], v[12:13], v[10:11], -v[26:27]
	s_mov_b32 s1, 0x7ff00000
	v_add_f64 v[14:15], v[16:17], -v[14:15]
	v_add_f64 v[6:7], v[8:9], v[6:7]
	v_ldexp_f64 v[8:9], v[24:25], 2
	v_cmp_neq_f64_e64 vcc, |v[20:21]|, s[0:1]
	v_add_f64 v[16:17], v[14:15], v[30:31]
	v_mov_b32_e32 v1, 0x40100000
	v_cndmask_b32_e32 v9, 0, v9, vcc
	v_cndmask_b32_e32 v8, 0, v8, vcc
	v_add_f64 v[10:11], v[16:17], v[8:9]
	v_cmp_gt_f64_e32 vcc, 0, v[10:11]
	v_mov_b32_e32 v10, 0
	v_add_f64 v[14:15], v[16:17], -v[14:15]
	v_cndmask_b32_e32 v11, 0, v1, vcc
	v_add_f64 v[8:9], v[8:9], v[10:11]
	v_add_f64 v[12:13], v[16:17], v[8:9]
	v_cvt_i32_f64_e32 v1, v[12:13]
	v_cvt_f64_i32_e32 v[12:13], v1
	v_add_f64 v[8:9], v[8:9], -v[12:13]
	v_add_f64 v[12:13], v[16:17], v[8:9]
	v_add_f64 v[14:15], v[30:31], -v[14:15]
	v_add_f64 v[8:9], v[12:13], -v[8:9]
	v_add_f64 v[6:7], v[14:15], v[6:7]
	v_add_f64 v[8:9], v[16:17], -v[8:9]
	v_add_f64 v[6:7], v[6:7], v[8:9]
	v_cmp_le_f64_e32 vcc, 0.5, v[12:13]
	v_mov_b32_e32 v8, 0x3ff00000
	s_mov_b32 s8, 0x33145c07
	v_cndmask_b32_e32 v11, 0, v8, vcc
	v_addc_co_u32_e64 v1, s[0:1], 0, v1, vcc
	v_add_f64 v[8:9], v[12:13], -v[10:11]
	v_add_f64 v[10:11], v[8:9], v[6:7]
	s_mov_b32 s0, 0x54442d18
	v_add_f64 v[8:9], v[10:11], -v[8:9]
	s_mov_b32 s1, 0x3ff921fb
	v_add_f64 v[6:7], v[6:7], -v[8:9]
	v_mul_f64 v[8:9], v[10:11], s[0:1]
	v_fma_f64 v[12:13], v[10:11], s[0:1], -v[8:9]
	s_mov_b32 s9, 0x3c91a626
	v_fmac_f64_e32 v[12:13], s[8:9], v[10:11]
	v_fmac_f64_e32 v[12:13], s[0:1], v[6:7]
	v_add_f64 v[6:7], v[8:9], v[12:13]
	v_add_f64 v[8:9], v[6:7], -v[8:9]
	v_add_f64 v[8:9], v[12:13], -v[8:9]
	s_andn2_saveexec_b64 s[0:1], s[6:7]
	s_cbranch_execz .LBB7_192
	s_branch .LBB7_191
.LBB7_190:
	s_andn2_saveexec_b64 s[0:1], s[6:7]
	s_cbranch_execz .LBB7_192
.LBB7_191:
	s_mov_b32 s6, 0x6dc9c883
	s_mov_b32 s7, 0x3fe45f30
	v_mul_f64 v[6:7], |v[4:5]|, s[6:7]
	s_mov_b32 s6, 0x54442d18
	v_rndne_f64_e32 v[10:11], v[6:7]
	s_mov_b32 s7, 0xbff921fb
	v_fma_f64 v[6:7], v[10:11], s[6:7], |v[4:5]|
	s_mov_b32 s7, 0xbc91a626
	s_mov_b32 s6, 0x33145c00
	v_mul_f64 v[12:13], v[10:11], s[6:7]
	v_add_f64 v[16:17], v[6:7], v[12:13]
	v_fma_f64 v[8:9], s[6:7], v[10:11], v[6:7]
	s_mov_b32 s7, 0x3c91a626
	v_add_f64 v[6:7], v[6:7], -v[16:17]
	v_fma_f64 v[14:15], s[6:7], v[10:11], v[12:13]
	v_add_f64 v[6:7], v[6:7], v[12:13]
	v_add_f64 v[12:13], v[16:17], -v[8:9]
	v_add_f64 v[6:7], v[12:13], v[6:7]
	s_mov_b32 s6, 0x252049c0
	v_add_f64 v[12:13], v[6:7], -v[14:15]
	s_mov_b32 s7, 0xb97b839a
	v_fmac_f64_e32 v[12:13], s[6:7], v[10:11]
	v_add_f64 v[6:7], v[8:9], v[12:13]
	v_add_f64 v[8:9], v[6:7], -v[8:9]
	v_add_f64 v[8:9], v[12:13], -v[8:9]
	v_cvt_i32_f64_e32 v1, v[10:11]
.LBB7_192:
	s_or_b64 exec, exec, s[0:1]
                                        ; implicit-def: $vgpr23
                                        ; implicit-def: $vgpr10_vgpr11
                                        ; implicit-def: $vgpr12_vgpr13
	s_and_saveexec_b64 s[0:1], s[4:5]
	s_xor_b64 s[4:5], exec, s[0:1]
	s_cbranch_execz .LBB7_194
; %bb.193:
	s_mov_b32 s0, 0
	s_mov_b32 s1, 0x7b000000
	s_movk_i32 s6, 0xff80
	v_and_b32_e32 v16, 0x7fffffff, v5
	v_ldexp_f64 v[14:15], |v[4:5]|, s6
	v_cmp_ge_f64_e64 vcc, |v[4:5]|, s[0:1]
	v_trig_preop_f64 v[10:11], |v[4:5]|, 0
	v_trig_preop_f64 v[12:13], |v[4:5]|, 1
	v_cndmask_b32_e32 v15, v16, v15, vcc
	v_cndmask_b32_e32 v14, v4, v14, vcc
	v_mul_f64 v[18:19], v[10:11], v[14:15]
	v_mul_f64 v[16:17], v[12:13], v[14:15]
	v_fma_f64 v[10:11], v[10:11], v[14:15], -v[18:19]
	v_add_f64 v[20:21], v[16:17], v[10:11]
	v_add_f64 v[30:31], v[20:21], -v[16:17]
	v_add_f64 v[10:11], v[10:11], -v[30:31]
	v_add_f64 v[30:31], v[20:21], -v[30:31]
	v_add_f64 v[30:31], v[16:17], -v[30:31]
	v_fma_f64 v[12:13], v[12:13], v[14:15], -v[16:17]
	v_trig_preop_f64 v[16:17], |v[4:5]|, 2
	v_add_f64 v[10:11], v[10:11], v[30:31]
	v_mul_f64 v[30:31], v[16:17], v[14:15]
	v_add_f64 v[32:33], v[30:31], v[12:13]
	v_add_f64 v[24:25], v[18:19], v[20:21]
	;; [unrolled: 1-line block ×3, first 2 shown]
	v_ldexp_f64 v[26:27], v[24:25], -2
	v_add_f64 v[18:19], v[24:25], -v[18:19]
	v_add_f64 v[24:25], v[34:35], -v[32:33]
	;; [unrolled: 1-line block ×5, first 2 shown]
	v_add_f64 v[10:11], v[10:11], v[24:25]
	v_add_f64 v[24:25], v[32:33], -v[30:31]
	v_add_f64 v[12:13], v[12:13], -v[24:25]
	;; [unrolled: 1-line block ×4, first 2 shown]
	v_add_f64 v[12:13], v[12:13], v[24:25]
	s_mov_b32 s0, 0
	v_fract_f64_e32 v[28:29], v[26:27]
	v_add_f64 v[10:11], v[12:13], v[10:11]
	v_fma_f64 v[12:13], v[16:17], v[14:15], -v[30:31]
	s_mov_b32 s1, 0x7ff00000
	v_add_f64 v[18:19], v[20:21], -v[18:19]
	v_add_f64 v[10:11], v[12:13], v[10:11]
	v_ldexp_f64 v[12:13], v[28:29], 2
	v_cmp_neq_f64_e64 vcc, |v[26:27]|, s[0:1]
	v_add_f64 v[20:21], v[18:19], v[34:35]
	v_mov_b32_e32 v16, 0x40100000
	v_cndmask_b32_e32 v13, 0, v13, vcc
	v_cndmask_b32_e32 v12, 0, v12, vcc
	v_add_f64 v[14:15], v[20:21], v[12:13]
	v_cmp_gt_f64_e32 vcc, 0, v[14:15]
	v_mov_b32_e32 v14, 0
	v_add_f64 v[18:19], v[20:21], -v[18:19]
	v_cndmask_b32_e32 v15, 0, v16, vcc
	v_add_f64 v[12:13], v[12:13], v[14:15]
	v_add_f64 v[16:17], v[20:21], v[12:13]
	v_cvt_i32_f64_e32 v15, v[16:17]
	v_cvt_f64_i32_e32 v[16:17], v15
	v_add_f64 v[12:13], v[12:13], -v[16:17]
	v_add_f64 v[16:17], v[20:21], v[12:13]
	v_add_f64 v[18:19], v[34:35], -v[18:19]
	v_add_f64 v[12:13], v[16:17], -v[12:13]
	v_add_f64 v[10:11], v[18:19], v[10:11]
	v_add_f64 v[12:13], v[20:21], -v[12:13]
	v_add_f64 v[10:11], v[10:11], v[12:13]
	v_cmp_le_f64_e32 vcc, 0.5, v[16:17]
	v_mov_b32_e32 v12, 0x3ff00000
	s_mov_b32 s6, 0x33145c07
	v_addc_co_u32_e64 v23, s[0:1], 0, v15, vcc
	v_cndmask_b32_e32 v15, 0, v12, vcc
	v_add_f64 v[12:13], v[16:17], -v[14:15]
	v_add_f64 v[14:15], v[12:13], v[10:11]
	s_mov_b32 s0, 0x54442d18
	v_add_f64 v[12:13], v[14:15], -v[12:13]
	s_mov_b32 s1, 0x3ff921fb
	v_add_f64 v[10:11], v[10:11], -v[12:13]
	v_mul_f64 v[12:13], v[14:15], s[0:1]
	v_fma_f64 v[16:17], v[14:15], s[0:1], -v[12:13]
	s_mov_b32 s7, 0x3c91a626
	v_fmac_f64_e32 v[16:17], s[6:7], v[14:15]
	v_fmac_f64_e32 v[16:17], s[0:1], v[10:11]
	v_add_f64 v[10:11], v[12:13], v[16:17]
	v_add_f64 v[12:13], v[10:11], -v[12:13]
	v_add_f64 v[12:13], v[16:17], -v[12:13]
	s_andn2_saveexec_b64 s[0:1], s[4:5]
	s_cbranch_execnz .LBB7_195
	s_branch .LBB7_196
.LBB7_194:
	s_andn2_saveexec_b64 s[0:1], s[4:5]
	s_cbranch_execz .LBB7_196
.LBB7_195:
	s_mov_b32 s4, 0x6dc9c883
	s_mov_b32 s5, 0x3fe45f30
	v_mul_f64 v[10:11], |v[4:5]|, s[4:5]
	s_mov_b32 s4, 0x54442d18
	v_rndne_f64_e32 v[14:15], v[10:11]
	s_mov_b32 s5, 0xbff921fb
	v_fma_f64 v[10:11], v[14:15], s[4:5], |v[4:5]|
	s_mov_b32 s5, 0xbc91a626
	s_mov_b32 s4, 0x33145c00
	v_mul_f64 v[16:17], v[14:15], s[4:5]
	v_add_f64 v[20:21], v[10:11], v[16:17]
	v_fma_f64 v[12:13], s[4:5], v[14:15], v[10:11]
	s_mov_b32 s5, 0x3c91a626
	v_add_f64 v[10:11], v[10:11], -v[20:21]
	v_fma_f64 v[18:19], s[4:5], v[14:15], v[16:17]
	v_add_f64 v[10:11], v[10:11], v[16:17]
	v_add_f64 v[16:17], v[20:21], -v[12:13]
	v_add_f64 v[10:11], v[16:17], v[10:11]
	s_mov_b32 s4, 0x252049c0
	v_add_f64 v[16:17], v[10:11], -v[18:19]
	s_mov_b32 s5, 0xb97b839a
	v_fmac_f64_e32 v[16:17], s[4:5], v[14:15]
	v_add_f64 v[10:11], v[12:13], v[16:17]
	v_add_f64 v[12:13], v[10:11], -v[12:13]
	v_add_f64 v[12:13], v[16:17], -v[12:13]
	v_cvt_i32_f64_e32 v23, v[14:15]
.LBB7_196:
	s_or_b64 exec, exec, s[0:1]
	s_mov_b32 s0, 0
	s_mov_b32 s1, 0x40140000
	v_div_scale_f64 v[14:15], s[4:5], v[2:3], v[2:3], s[0:1]
	v_rcp_f64_e32 v[16:17], v[14:15]
	v_mov_b32_e32 v24, 0x5948aa83
	v_mov_b32_e32 v25, 0x3fb19fdd
	v_mov_b32_e32 v26, 0xc66d8fd6
	v_fma_f64 v[18:19], -v[14:15], v[16:17], 1.0
	v_fmac_f64_e32 v[16:17], v[16:17], v[18:19]
	v_fma_f64 v[18:19], -v[14:15], v[16:17], 1.0
	v_fmac_f64_e32 v[16:17], v[16:17], v[18:19]
	v_div_scale_f64 v[18:19], vcc, s[0:1], v[2:3], s[0:1]
	v_mul_f64 v[20:21], v[18:19], v[16:17]
	v_fma_f64 v[14:15], -v[14:15], v[20:21], v[18:19]
	v_mov_b32_e32 v27, 0x4013edb5
	s_nop 0
	v_div_fmas_f64 v[14:15], v[14:15], v[16:17], v[20:21]
	v_div_fixup_f64 v[14:15], v[14:15], v[2:3], s[0:1]
	v_mul_f64 v[18:19], v[14:15], v[14:15]
	v_mov_b32_e32 v16, 0x4c6c651b
	v_mov_b32_e32 v17, 0x3f48f92c
	v_fmac_f64_e32 v[16:17], 0, v[18:19]
	v_mov_b32_e32 v20, 0xa3fec4b6
	v_mov_b32_e32 v21, 0x3fb2b948
	v_fmac_f64_e32 v[20:21], v[18:19], v[16:17]
	;; [unrolled: 3-line block ×7, first 2 shown]
	v_fmac_f64_e32 v[24:25], v[18:19], v[16:17]
	v_mov_b32_e32 v16, 0xb850eed6
	v_mov_b32_e32 v17, 0x3ff1aea9
	v_fmac_f64_e32 v[16:17], v[18:19], v[24:25]
	v_mov_b32_e32 v24, 0xf7d251a1
	v_mov_b32_e32 v25, 0x40144ba2
	;; [unrolled: 3-line block ×5, first 2 shown]
	v_fmac_f64_e32 v[16:17], 0, v[18:19]
	v_fmac_f64_e32 v[26:27], v[18:19], v[16:17]
	v_mov_b32_e32 v16, 0x9acf1c67
	v_mov_b32_e32 v17, 0x4052f4b9
	v_fmac_f64_e32 v[16:17], v[18:19], v[26:27]
	v_mov_b32_e32 v26, 0x47aa180d
	v_mov_b32_e32 v27, 0x4076ec79
	;; [unrolled: 3-line block ×6, first 2 shown]
	v_mov_b32_e32 v26, 0x60895077
	v_mov_b32_e32 v27, 0x40528f30
	v_fmac_f64_e32 v[16:17], v[18:19], v[28:29]
	v_fmac_f64_e32 v[26:27], 0, v[18:19]
	v_mov_b32_e32 v28, 0xa20e5f6f
	v_mov_b32_e32 v29, 0x409081cb
	v_fmac_f64_e32 v[28:29], v[18:19], v[26:27]
	v_mov_b32_e32 v26, 0x1bfdfe81
	v_mov_b32_e32 v27, 0x40b37a69
	;; [unrolled: 3-line block ×5, first 2 shown]
	v_fma_f64 v[24:25], v[18:19], v[24:25], 1.0
	v_fmac_f64_e32 v[28:29], v[18:19], v[26:27]
	v_fma_f64 v[26:27], v[18:19], v[20:21], 1.0
	v_div_scale_f64 v[30:31], s[0:1], v[24:25], v[24:25], v[26:27]
	v_rcp_f64_e32 v[32:33], v[30:31]
	v_mov_b32_e32 v20, 0x6ae75997
	v_mov_b32_e32 v21, 0x4075017f
	v_fmac_f64_e32 v[20:21], v[18:19], v[28:29]
	v_fma_f64 v[18:19], -v[30:31], v[32:33], 1.0
	v_fmac_f64_e32 v[32:33], v[32:33], v[18:19]
	v_fma_f64 v[18:19], -v[30:31], v[32:33], 1.0
	v_fmac_f64_e32 v[32:33], v[32:33], v[18:19]
	v_div_scale_f64 v[18:19], vcc, v[26:27], v[24:25], v[26:27]
	v_mul_f64 v[28:29], v[18:19], v[32:33]
	v_fma_f64 v[18:19], -v[30:31], v[28:29], v[18:19]
	s_mov_b32 s0, 0x9037ab78
	s_nop 0
	v_div_fmas_f64 v[18:19], v[18:19], v[32:33], v[28:29]
	s_mov_b32 s1, 0x3e21eeb6
	s_mov_b32 s4, 0x46cc5e42
	v_div_fixup_f64 v[18:19], v[18:19], v[24:25], v[26:27]
	v_mul_f64 v[24:25], v[6:7], v[6:7]
	s_mov_b32 s5, 0xbda907db
	v_mov_b64_e32 v[32:33], s[0:1]
	s_mov_b32 s6, 0xa17f65f6
	v_mul_f64 v[26:27], v[24:25], 0.5
	v_fma_f64 v[34:35], s[4:5], v[24:25], v[32:33]
	s_mov_b32 s7, 0xbe927e4f
	s_mov_b32 s8, 0x19f4ec90
	v_add_f64 v[28:29], -v[26:27], 1.0
	v_fma_f64 v[34:35], v[24:25], v[34:35], s[6:7]
	s_mov_b32 s9, 0x3efa01a0
	s_mov_b32 s10, 0x16c16967
	v_add_f64 v[30:31], -v[28:29], 1.0
	v_fma_f64 v[34:35], v[24:25], v[34:35], s[8:9]
	s_mov_b32 s11, 0xbf56c16c
	s_mov_b32 s12, 0x55555555
	v_add_f64 v[26:27], v[30:31], -v[26:27]
	v_fma_f64 v[34:35], v[24:25], v[34:35], s[10:11]
	s_mov_b32 s13, 0x3fa55555
	v_mul_f64 v[30:31], v[24:25], v[24:25]
	v_fma_f64 v[34:35], v[24:25], v[34:35], s[12:13]
	v_fma_f64 v[26:27], v[6:7], -v[8:9], v[26:27]
	s_mov_b32 s0, 0xb42fdfa7
	v_fmac_f64_e32 v[26:27], v[30:31], v[34:35]
	s_mov_b32 s1, 0xbe5ae600
	s_mov_b32 s14, 0xf9a43bb8
	v_add_f64 v[26:27], v[28:29], v[26:27]
	s_mov_b32 s15, 0x3de5e0b2
	v_mov_b64_e32 v[28:29], s[0:1]
	s_mov_b32 s28, 0x796cde01
	v_fma_f64 v[30:31], s[14:15], v[24:25], v[28:29]
	s_mov_b32 s29, 0x3ec71de3
	s_mov_b32 s30, 0x19e83e5c
	v_fma_f64 v[30:31], v[24:25], v[30:31], s[28:29]
	s_mov_b32 s31, 0xbf2a01a0
	;; [unrolled: 3-line block ×3, first 2 shown]
	v_fma_f64 v[30:31], v[24:25], v[30:31], s[50:51]
	v_mul_f64 v[34:35], v[6:7], -v[24:25]
	v_mul_f64 v[36:37], v[8:9], 0.5
	v_fmac_f64_e32 v[36:37], v[34:35], v[30:31]
	v_fma_f64 v[8:9], v[24:25], v[36:37], -v[8:9]
	s_mov_b32 s53, 0xbfc55555
	s_mov_b32 s52, s12
	v_fmac_f64_e32 v[8:9], s[52:53], v[34:35]
	v_add_f64 v[6:7], v[6:7], -v[8:9]
	v_and_b32_e32 v8, 1, v1
	v_cmp_eq_u32_e32 vcc, 0, v8
	v_lshlrev_b32_e32 v1, 30, v1
	v_xor_b32_e32 v1, v1, v5
	v_cndmask_b32_e32 v24, v26, v6, vcc
	v_cndmask_b32_e32 v6, v27, v7, vcc
	s_brev_b32 s57, 1
	v_bitop3_b32 v1, v6, v1, s57 bitop3:0x78
	v_div_scale_f64 v[6:7], s[0:1], v[20:21], v[20:21], v[16:17]
	v_rcp_f64_e32 v[8:9], v[6:7]
	s_movk_i32 s58, 0x1f8
	v_cmp_class_f64_e64 s[0:1], v[4:5], s58
	v_mov_b32_e32 v30, 0x7ff80000
	s_nop 0
	v_cndmask_b32_e64 v4, 0, v24, s[0:1]
	v_fma_f64 v[24:25], -v[6:7], v[8:9], 1.0
	v_fmac_f64_e32 v[8:9], v[8:9], v[24:25]
	v_fma_f64 v[24:25], -v[6:7], v[8:9], 1.0
	v_fmac_f64_e32 v[8:9], v[8:9], v[24:25]
	v_div_scale_f64 v[24:25], vcc, v[16:17], v[20:21], v[16:17]
	v_mul_f64 v[26:27], v[24:25], v[8:9]
	v_fma_f64 v[6:7], -v[6:7], v[26:27], v[24:25]
	v_cndmask_b32_e64 v5, v30, v1, s[0:1]
	s_nop 0
	v_div_fmas_f64 v[6:7], v[6:7], v[8:9], v[26:27]
	v_div_fixup_f64 v[6:7], v[6:7], v[20:21], v[16:17]
	v_mul_f64 v[8:9], v[10:11], v[10:11]
	v_mul_f64 v[6:7], v[14:15], v[6:7]
	v_mul_f64 v[14:15], v[8:9], 0.5
	v_fmac_f64_e32 v[32:33], s[4:5], v[8:9]
	v_add_f64 v[16:17], -v[14:15], 1.0
	v_fma_f64 v[24:25], v[8:9], v[32:33], s[6:7]
	v_add_f64 v[20:21], -v[16:17], 1.0
	v_fma_f64 v[24:25], v[8:9], v[24:25], s[8:9]
	v_add_f64 v[14:15], v[20:21], -v[14:15]
	v_fma_f64 v[24:25], v[8:9], v[24:25], s[10:11]
	v_mul_f64 v[20:21], v[8:9], v[8:9]
	v_fma_f64 v[24:25], v[8:9], v[24:25], s[12:13]
	v_fma_f64 v[14:15], v[10:11], -v[12:13], v[14:15]
	v_fmac_f64_e32 v[14:15], v[20:21], v[24:25]
	v_fmac_f64_e32 v[28:29], s[14:15], v[8:9]
	v_add_f64 v[14:15], v[16:17], v[14:15]
	v_fma_f64 v[16:17], v[8:9], v[28:29], s[28:29]
	v_fma_f64 v[16:17], v[8:9], v[16:17], s[30:31]
	;; [unrolled: 1-line block ×3, first 2 shown]
	v_mul_f64 v[20:21], v[10:11], -v[8:9]
	v_mul_f64 v[24:25], v[12:13], 0.5
	v_fmac_f64_e32 v[24:25], v[20:21], v[16:17]
	v_fma_f64 v[8:9], v[8:9], v[24:25], -v[12:13]
	v_fmac_f64_e32 v[8:9], s[52:53], v[20:21]
	v_add_f64 v[8:9], v[10:11], -v[8:9]
	v_xor_b32_e32 v1, 0x80000000, v9
	v_and_b32_e32 v9, 1, v23
	v_cmp_eq_u32_e32 vcc, 0, v9
	v_lshlrev_b32_e32 v9, 30, v23
	s_nop 0
	v_cndmask_b32_e32 v1, v1, v15, vcc
	v_cndmask_b32_e32 v8, v8, v14, vcc
	v_bitop3_b32 v1, v1, v9, s57 bitop3:0x78
	v_cndmask_b32_e64 v8, 0, v8, s[0:1]
	v_cndmask_b32_e64 v9, v30, v1, s[0:1]
	s_mov_b32 s0, 0
	s_brev_b32 s1, 8
	v_mov_b32_e32 v1, 0x100
	v_cmp_gt_f64_e32 vcc, s[0:1], v[2:3]
	v_mul_f64 v[6:7], v[6:7], v[8:9]
	v_fmac_f64_e32 v[6:7], v[18:19], v[4:5]
	v_cndmask_b32_e32 v1, 0, v1, vcc
	v_ldexp_f64 v[2:3], v[2:3], v1
	v_rsq_f64_e32 v[4:5], v[2:3]
	v_mov_b32_e32 v1, 0xffffff80
	v_cndmask_b32_e32 v1, 0, v1, vcc
	s_mov_b32 s0, 0x33d43651
	v_mul_f64 v[8:9], v[2:3], v[4:5]
	v_mul_f64 v[4:5], v[4:5], 0.5
	v_fma_f64 v[10:11], -v[4:5], v[8:9], 0.5
	v_fmac_f64_e32 v[8:9], v[8:9], v[10:11]
	v_fma_f64 v[12:13], -v[8:9], v[8:9], v[2:3]
	v_fmac_f64_e32 v[4:5], v[4:5], v[10:11]
	v_fmac_f64_e32 v[8:9], v[12:13], v[4:5]
	v_fma_f64 v[10:11], -v[8:9], v[8:9], v[2:3]
	v_fmac_f64_e32 v[8:9], v[10:11], v[4:5]
	v_ldexp_f64 v[4:5], v[8:9], v1
	v_mov_b32_e32 v1, 0x260
	s_mov_b32 s1, 0x3fe98845
	v_cmp_class_f64_e32 vcc, v[2:3], v1
	v_mul_f64 v[6:7], v[6:7], s[0:1]
	s_nop 0
	v_cndmask_b32_e32 v3, v5, v3, vcc
	v_cndmask_b32_e32 v2, v4, v2, vcc
	v_div_scale_f64 v[4:5], s[0:1], v[2:3], v[2:3], v[6:7]
	v_rcp_f64_e32 v[8:9], v[4:5]
	s_nop 0
	v_fma_f64 v[10:11], -v[4:5], v[8:9], 1.0
	v_fmac_f64_e32 v[8:9], v[8:9], v[10:11]
	v_fma_f64 v[10:11], -v[4:5], v[8:9], 1.0
	v_fmac_f64_e32 v[8:9], v[8:9], v[10:11]
	v_div_scale_f64 v[10:11], vcc, v[6:7], v[2:3], v[6:7]
	v_mul_f64 v[12:13], v[10:11], v[8:9]
	v_fma_f64 v[4:5], -v[4:5], v[12:13], v[10:11]
	s_nop 1
	v_div_fmas_f64 v[4:5], v[4:5], v[8:9], v[12:13]
	v_div_fixup_f64 v[6:7], v[4:5], v[2:3], v[6:7]
.LBB7_197:
	s_or_b64 exec, exec, s[2:3]
	v_add_u32_e32 v22, 0x80, v22
	global_store_dwordx2 v0, v[6:7], s[16:17]
	s_or_b64 exec, exec, s[48:49]
	v_cmp_gt_i32_e32 vcc, s55, v22
	s_and_saveexec_b64 s[48:49], vcc
	s_cbranch_execnz .LBB7_166
.LBB7_198:
	s_or_b64 exec, exec, s[48:49]
	v_cmp_gt_i32_e32 vcc, s55, v22
	s_and_saveexec_b64 s[48:49], vcc
	s_cbranch_execnz .LBB7_225
.LBB7_199:
	s_or_b64 exec, exec, s[48:49]
                                        ; implicit-def: $vgpr16
                                        ; implicit-def: $vgpr22
	s_andn2_saveexec_b64 s[0:1], s[38:39]
	s_cbranch_execnz .LBB7_9
.LBB7_200:
	s_endpgm
.LBB7_201:
	v_mov_b32_e32 v0, 0
	s_mov_b32 s57, 0
	v_mov_b32_e32 v1, v0
                                        ; implicit-def: $vgpr2
	v_mov_b32_e32 v4, v22
.LBB7_202:
	s_and_b32 s4, s58, 3
	s_cmp_eq_u32 s4, 0
	s_cbranch_scc1 .LBB7_205
; %bb.203:
	s_lshl_b32 s0, s57, 3
	s_add_u32 s0, s34, s0
	s_addc_u32 s1, s35, 0
	s_add_u32 s0, s0, 0xc4
	s_addc_u32 s1, s1, 0
	s_mul_i32 s2, s57, 12
	s_add_u32 s2, s34, s2
	s_addc_u32 s3, s35, 0
.LBB7_204:                              ; =>This Inner Loop Header: Depth=1
	s_load_dwordx2 s[6:7], s[2:3], 0x4
	s_load_dword s5, s[2:3], 0xc
	s_load_dwordx2 s[8:9], s[0:1], 0x0
	v_mov_b32_e32 v2, v1
	s_add_u32 s2, s2, 12
	s_waitcnt lgkmcnt(0)
	v_mul_hi_u32 v1, s7, v4
	v_add_u32_e32 v1, v4, v1
	v_lshrrev_b32_e32 v1, s5, v1
	s_addc_u32 s3, s3, 0
	v_mul_lo_u32 v3, v1, s6
	s_add_u32 s0, s0, 8
	v_sub_u32_e32 v5, v4, v3
	s_addc_u32 s1, s1, 0
	s_add_i32 s4, s4, -1
	v_mov_b32_e32 v4, v1
	v_mad_u64_u32 v[2:3], s[6:7], v5, s9, v[2:3]
	v_mad_u64_u32 v[0:1], s[6:7], v5, s8, v[0:1]
	s_cmp_lg_u32 s4, 0
	v_mov_b32_e32 v1, v2
	s_cbranch_scc1 .LBB7_204
.LBB7_205:
	s_cbranch_execnz .LBB7_208
.LBB7_206:
	s_waitcnt lgkmcnt(0)
	v_mul_hi_u32 v0, s25, v22
	v_add_u32_e32 v0, v22, v0
	v_lshrrev_b32_e32 v1, s26, v0
	v_mul_lo_u32 v0, v1, s24
	v_sub_u32_e32 v0, v22, v0
	v_mul_lo_u32 v2, v0, s21
	s_andn2_b64 vcc, exec, s[42:43]
	v_mul_lo_u32 v0, v0, s20
	s_cbranch_vccnz .LBB7_208
; %bb.207:
	v_mul_hi_u32 v3, s40, v1
	v_add_u32_e32 v3, v1, v3
	v_lshrrev_b32_e32 v3, s41, v3
	v_mul_lo_u32 v3, v3, s27
	v_sub_u32_e32 v3, v1, v3
	v_mad_u64_u32 v[0:1], s[0:1], v3, s22, v[0:1]
	v_mad_u64_u32 v[2:3], s[0:1], v3, s23, v[2:3]
.LBB7_208:
	s_waitcnt lgkmcnt(0)
	global_load_dwordx2 v[2:3], v2, s[18:19]
	s_mov_b32 s0, 0
	s_mov_b32 s1, 0x40140000
                                        ; implicit-def: $vgpr6_vgpr7
	s_waitcnt vmcnt(0)
	v_cmp_ge_f64_e32 vcc, s[0:1], v[2:3]
	s_and_saveexec_b64 s[0:1], vcc
	s_xor_b64 s[0:1], exec, s[0:1]
	s_cbranch_execz .LBB7_214
; %bb.209:
	v_mov_b32_e32 v6, 0
	v_cmp_neq_f64_e32 vcc, 0, v[2:3]
	v_mov_b32_e32 v7, 0xfff00000
	s_and_saveexec_b64 s[2:3], vcc
	s_cbranch_execz .LBB7_213
; %bb.210:
	v_mov_b32_e32 v6, 0
	v_cmp_nge_f64_e32 vcc, 0, v[2:3]
	v_mov_b32_e32 v7, 0x7ff80000
	s_and_saveexec_b64 s[4:5], vcc
	s_cbranch_execz .LBB7_212
; %bb.211:
	v_mul_f64 v[4:5], v[2:3], v[2:3]
	v_mov_b32_e32 v6, 0x62f9b6c5
	v_mov_b32_e32 v7, 0x41d2d2be
	v_fmac_f64_e32 v[6:7], 0, v[4:5]
	v_mov_b32_e32 v8, 0x58836521
	v_mov_b32_e32 v9, 0xc262d72d
	v_fmac_f64_e32 v[8:9], v[4:5], v[6:7]
	;; [unrolled: 3-line block ×14, first 2 shown]
	v_div_scale_f64 v[6:7], s[6:7], v[10:11], v[10:11], v[8:9]
	v_rcp_f64_e32 v[12:13], v[6:7]
	v_mov_b32_e32 v18, 0xd438c6b
	v_mov_b32_e32 v19, 0x425a52ba
	;; [unrolled: 1-line block ×3, first 2 shown]
	v_fma_f64 v[14:15], -v[6:7], v[12:13], 1.0
	v_fmac_f64_e32 v[12:13], v[12:13], v[14:15]
	v_fma_f64 v[14:15], -v[6:7], v[12:13], 1.0
	v_fmac_f64_e32 v[12:13], v[12:13], v[14:15]
	v_div_scale_f64 v[14:15], vcc, v[8:9], v[10:11], v[8:9]
	v_mul_f64 v[16:17], v[14:15], v[12:13]
	v_fma_f64 v[6:7], -v[6:7], v[16:17], v[14:15]
	v_mov_b32_e32 v14, 0x4cda4fc5
	v_mov_b32_e32 v15, 0xc1cad23c
	v_fmac_f64_e32 v[14:15], 0, v[4:5]
	v_fmac_f64_e32 v[18:19], v[4:5], v[14:15]
	v_mov_b32_e32 v14, 0xe6ccf175
	v_mov_b32_e32 v15, 0xc2d08a92
	v_fmac_f64_e32 v[14:15], v[4:5], v[18:19]
	v_mov_b32_e32 v18, 0x1b7086e7
	v_mov_b32_e32 v19, 0x408366b1
	v_fmac_f64_e32 v[18:19], 0, v[4:5]
	v_mov_b32_e32 v21, 0x410f5eda
	v_fmac_f64_e32 v[20:21], v[4:5], v[18:19]
	v_mov_b32_e32 v18, 0xdc92a1b1
	v_mov_b32_e32 v19, 0x4193e954
	v_fmac_f64_e32 v[18:19], v[4:5], v[20:21]
	v_mov_b32_e32 v20, 0x7befeac1
	;; [unrolled: 3-line block ×7, first 2 shown]
	v_mov_b32_e32 v19, 0x432a2b42
	v_fmac_f64_e32 v[18:19], v[4:5], v[14:15]
	v_div_scale_f64 v[14:15], s[6:7], v[20:21], v[20:21], v[18:19]
	v_rcp_f64_e32 v[24:25], v[14:15]
	v_div_fmas_f64 v[4:5], v[6:7], v[12:13], v[16:17]
	v_div_fixup_f64 v[4:5], v[4:5], v[10:11], v[8:9]
	s_mov_b32 s6, 0x55555555
	v_fma_f64 v[6:7], -v[14:15], v[24:25], 1.0
	v_fmac_f64_e32 v[24:25], v[24:25], v[6:7]
	v_fma_f64 v[6:7], -v[14:15], v[24:25], 1.0
	v_fmac_f64_e32 v[24:25], v[24:25], v[6:7]
	v_div_scale_f64 v[6:7], vcc, v[18:19], v[20:21], v[18:19]
	v_mul_f64 v[8:9], v[6:7], v[24:25]
	v_fma_f64 v[6:7], -v[14:15], v[8:9], v[6:7]
	s_mov_b32 s7, 0x3fe55555
	s_nop 0
	v_div_fmas_f64 v[6:7], v[6:7], v[24:25], v[8:9]
	v_div_fixup_f64 v[6:7], v[6:7], v[20:21], v[18:19]
	v_mov_b32_e32 v8, 0x4189822c
	v_mov_b32_e32 v9, 0xc02d5d2b
	v_mul_f64 v[6:7], v[2:3], v[6:7]
	v_fmac_f64_e32 v[8:9], v[2:3], v[2:3]
	v_mul_f64 v[6:7], v[8:9], v[6:7]
	v_mov_b32_e32 v8, 0x6072a432
	v_mov_b32_e32 v9, 0xc0489bf6
	v_fmac_f64_e32 v[8:9], v[2:3], v[2:3]
	v_mul_f64 v[6:7], v[8:9], v[6:7]
	v_frexp_mant_f64_e32 v[8:9], v[2:3]
	v_cmp_gt_f64_e32 vcc, s[6:7], v[8:9]
	s_mov_b32 s6, 0xbf559e2b
	s_mov_b32 s7, 0x3fc3ab76
	v_cndmask_b32_e64 v10, 0, 1, vcc
	v_ldexp_f64 v[8:9], v[8:9], v10
	v_add_f64 v[10:11], v[8:9], 1.0
	v_rcp_f64_e32 v[12:13], v[10:11]
	v_add_f64 v[16:17], v[10:11], -1.0
	v_add_f64 v[14:15], v[8:9], -1.0
	v_add_f64 v[8:9], v[8:9], -v[16:17]
	v_fma_f64 v[16:17], -v[10:11], v[12:13], 1.0
	v_fmac_f64_e32 v[12:13], v[16:17], v[12:13]
	v_fma_f64 v[16:17], -v[10:11], v[12:13], 1.0
	v_fmac_f64_e32 v[12:13], v[16:17], v[12:13]
	v_mul_f64 v[16:17], v[14:15], v[12:13]
	v_mul_f64 v[18:19], v[10:11], v[16:17]
	v_fma_f64 v[10:11], v[16:17], v[10:11], -v[18:19]
	v_fmac_f64_e32 v[10:11], v[16:17], v[8:9]
	v_add_f64 v[8:9], v[18:19], v[10:11]
	v_add_f64 v[20:21], v[14:15], -v[8:9]
	v_add_f64 v[18:19], v[8:9], -v[18:19]
	;; [unrolled: 1-line block ×5, first 2 shown]
	v_add_f64 v[8:9], v[10:11], v[8:9]
	v_add_f64 v[8:9], v[20:21], v[8:9]
	v_mul_f64 v[8:9], v[12:13], v[8:9]
	v_add_f64 v[10:11], v[16:17], v[8:9]
	v_add_f64 v[12:13], v[10:11], -v[16:17]
	v_add_f64 v[8:9], v[8:9], -v[12:13]
	v_mul_f64 v[12:13], v[10:11], v[10:11]
	v_mov_b32_e32 v14, 0x6b47b09a
	v_mov_b32_e32 v15, 0x3fc38538
	v_fmac_f64_e32 v[14:15], s[6:7], v[12:13]
	v_mov_b32_e32 v16, 0xd7f4df2e
	v_mov_b32_e32 v17, 0x3fc7474d
	v_fmac_f64_e32 v[16:17], v[12:13], v[14:15]
	;; [unrolled: 3-line block ×6, first 2 shown]
	v_ldexp_f64 v[14:15], v[10:11], 1
	v_mul_f64 v[10:11], v[10:11], v[12:13]
	v_mul_f64 v[10:11], v[10:11], v[16:17]
	v_add_f64 v[12:13], v[14:15], v[10:11]
	v_add_f64 v[14:15], v[12:13], -v[14:15]
	v_ldexp_f64 v[8:9], v[8:9], 1
	v_add_f64 v[10:11], v[10:11], -v[14:15]
	v_add_f64 v[8:9], v[8:9], v[10:11]
	v_frexp_exp_i32_f64_e32 v1, v[2:3]
	v_add_f64 v[10:11], v[12:13], v[8:9]
	v_subbrev_co_u32_e32 v1, vcc, 0, v1, vcc
	v_add_f64 v[12:13], v[10:11], -v[12:13]
	s_mov_b32 s6, 0xfefa39ef
	v_add_f64 v[8:9], v[8:9], -v[12:13]
	v_cvt_f64_i32_e32 v[12:13], v1
	s_mov_b32 s7, 0x3fe62e42
	v_mul_f64 v[14:15], v[12:13], s[6:7]
	v_fma_f64 v[16:17], v[12:13], s[6:7], -v[14:15]
	s_mov_b32 s6, 0x3b39803f
	s_mov_b32 s7, 0x3c7abc9e
	v_fmac_f64_e32 v[16:17], s[6:7], v[12:13]
	v_add_f64 v[12:13], v[14:15], v[16:17]
	v_add_f64 v[14:15], v[12:13], -v[14:15]
	v_add_f64 v[14:15], v[16:17], -v[14:15]
	v_add_f64 v[16:17], v[12:13], v[10:11]
	v_add_f64 v[18:19], v[16:17], -v[12:13]
	v_add_f64 v[20:21], v[16:17], -v[18:19]
	;; [unrolled: 1-line block ×4, first 2 shown]
	v_add_f64 v[10:11], v[10:11], v[12:13]
	v_add_f64 v[12:13], v[14:15], v[8:9]
	v_add_f64 v[18:19], v[12:13], -v[14:15]
	v_add_f64 v[20:21], v[12:13], -v[18:19]
	v_add_f64 v[10:11], v[12:13], v[10:11]
	v_add_f64 v[14:15], v[14:15], -v[20:21]
	v_add_f64 v[8:9], v[8:9], -v[18:19]
	v_add_f64 v[12:13], v[16:17], v[10:11]
	v_add_f64 v[8:9], v[8:9], v[14:15]
	v_add_f64 v[14:15], v[12:13], -v[16:17]
	v_div_scale_f64 v[16:17], s[6:7], v[2:3], v[2:3], -1.0
	v_rcp_f64_e32 v[18:19], v[16:17]
	v_add_f64 v[10:11], v[10:11], -v[14:15]
	v_add_f64 v[8:9], v[8:9], v[10:11]
	v_add_f64 v[8:9], v[12:13], v[8:9]
	v_fma_f64 v[10:11], -v[16:17], v[18:19], 1.0
	v_fmac_f64_e32 v[18:19], v[18:19], v[10:11]
	v_fma_f64 v[10:11], -v[16:17], v[18:19], 1.0
	v_fmac_f64_e32 v[18:19], v[18:19], v[10:11]
	v_div_scale_f64 v[10:11], vcc, -1.0, v[2:3], -1.0
	v_mul_f64 v[12:13], v[10:11], v[18:19]
	v_fma_f64 v[10:11], -v[16:17], v[12:13], v[10:11]
	s_mov_b32 s6, 0x6dc9c883
	s_nop 0
	v_div_fmas_f64 v[10:11], v[10:11], v[18:19], v[12:13]
	v_div_fixup_f64 v[10:11], v[10:11], v[2:3], -1.0
	v_fmac_f64_e32 v[10:11], v[6:7], v[8:9]
	s_mov_b32 s7, 0x3fe45f30
	v_mul_f64 v[6:7], v[10:11], s[6:7]
	v_fmac_f64_e32 v[6:7], v[2:3], v[4:5]
.LBB7_212:
	s_or_b64 exec, exec, s[4:5]
.LBB7_213:
	s_or_b64 exec, exec, s[2:3]
                                        ; implicit-def: $vgpr2_vgpr3
.LBB7_214:
	s_andn2_saveexec_b64 s[2:3], s[0:1]
	s_cbranch_execz .LBB7_224
; %bb.215:
	s_mov_b32 s0, 0x7f3321d2
	s_mov_b32 s1, 0xc002d97c
	v_add_f64 v[4:5], v[2:3], s[0:1]
	s_mov_b32 s0, 0
	s_mov_b32 s1, 0x41d00000
	v_cmp_nlt_f64_e64 s[4:5], |v[4:5]|, s[0:1]
                                        ; implicit-def: $vgpr1
                                        ; implicit-def: $vgpr6_vgpr7
                                        ; implicit-def: $vgpr8_vgpr9
	s_and_saveexec_b64 s[0:1], s[4:5]
	s_xor_b64 s[6:7], exec, s[0:1]
	s_cbranch_execz .LBB7_217
; %bb.216:
	s_mov_b32 s0, 0
	s_mov_b32 s1, 0x7b000000
	s_movk_i32 s8, 0xff80
	v_and_b32_e32 v1, 0x7fffffff, v5
	v_ldexp_f64 v[10:11], |v[4:5]|, s8
	v_cmp_ge_f64_e64 vcc, |v[4:5]|, s[0:1]
	v_trig_preop_f64 v[6:7], |v[4:5]|, 0
	v_trig_preop_f64 v[8:9], |v[4:5]|, 1
	v_cndmask_b32_e32 v11, v1, v11, vcc
	v_cndmask_b32_e32 v10, v4, v10, vcc
	v_mul_f64 v[14:15], v[6:7], v[10:11]
	v_mul_f64 v[12:13], v[8:9], v[10:11]
	v_fma_f64 v[6:7], v[6:7], v[10:11], -v[14:15]
	v_add_f64 v[16:17], v[12:13], v[6:7]
	v_add_f64 v[26:27], v[16:17], -v[12:13]
	v_add_f64 v[6:7], v[6:7], -v[26:27]
	;; [unrolled: 1-line block ×4, first 2 shown]
	v_fma_f64 v[8:9], v[8:9], v[10:11], -v[12:13]
	v_trig_preop_f64 v[12:13], |v[4:5]|, 2
	v_add_f64 v[6:7], v[6:7], v[26:27]
	v_mul_f64 v[26:27], v[12:13], v[10:11]
	v_add_f64 v[28:29], v[26:27], v[8:9]
	v_add_f64 v[18:19], v[14:15], v[16:17]
	v_add_f64 v[30:31], v[28:29], v[6:7]
	v_ldexp_f64 v[20:21], v[18:19], -2
	v_add_f64 v[14:15], v[18:19], -v[14:15]
	v_add_f64 v[18:19], v[30:31], -v[28:29]
	;; [unrolled: 1-line block ×5, first 2 shown]
	v_add_f64 v[6:7], v[6:7], v[18:19]
	v_add_f64 v[18:19], v[28:29], -v[26:27]
	v_add_f64 v[8:9], v[8:9], -v[18:19]
	;; [unrolled: 1-line block ×4, first 2 shown]
	v_add_f64 v[8:9], v[8:9], v[18:19]
	s_mov_b32 s0, 0
	v_fract_f64_e32 v[24:25], v[20:21]
	v_add_f64 v[6:7], v[8:9], v[6:7]
	v_fma_f64 v[8:9], v[12:13], v[10:11], -v[26:27]
	s_mov_b32 s1, 0x7ff00000
	v_add_f64 v[14:15], v[16:17], -v[14:15]
	v_add_f64 v[6:7], v[8:9], v[6:7]
	v_ldexp_f64 v[8:9], v[24:25], 2
	v_cmp_neq_f64_e64 vcc, |v[20:21]|, s[0:1]
	v_add_f64 v[16:17], v[14:15], v[30:31]
	v_mov_b32_e32 v1, 0x40100000
	v_cndmask_b32_e32 v9, 0, v9, vcc
	v_cndmask_b32_e32 v8, 0, v8, vcc
	v_add_f64 v[10:11], v[16:17], v[8:9]
	v_cmp_gt_f64_e32 vcc, 0, v[10:11]
	v_mov_b32_e32 v10, 0
	v_add_f64 v[14:15], v[16:17], -v[14:15]
	v_cndmask_b32_e32 v11, 0, v1, vcc
	v_add_f64 v[8:9], v[8:9], v[10:11]
	v_add_f64 v[12:13], v[16:17], v[8:9]
	v_cvt_i32_f64_e32 v1, v[12:13]
	v_cvt_f64_i32_e32 v[12:13], v1
	v_add_f64 v[8:9], v[8:9], -v[12:13]
	v_add_f64 v[12:13], v[16:17], v[8:9]
	v_add_f64 v[14:15], v[30:31], -v[14:15]
	v_add_f64 v[8:9], v[12:13], -v[8:9]
	v_add_f64 v[6:7], v[14:15], v[6:7]
	v_add_f64 v[8:9], v[16:17], -v[8:9]
	v_add_f64 v[6:7], v[6:7], v[8:9]
	v_cmp_le_f64_e32 vcc, 0.5, v[12:13]
	v_mov_b32_e32 v8, 0x3ff00000
	s_mov_b32 s8, 0x33145c07
	v_cndmask_b32_e32 v11, 0, v8, vcc
	v_addc_co_u32_e64 v1, s[0:1], 0, v1, vcc
	v_add_f64 v[8:9], v[12:13], -v[10:11]
	v_add_f64 v[10:11], v[8:9], v[6:7]
	s_mov_b32 s0, 0x54442d18
	v_add_f64 v[8:9], v[10:11], -v[8:9]
	s_mov_b32 s1, 0x3ff921fb
	v_add_f64 v[6:7], v[6:7], -v[8:9]
	v_mul_f64 v[8:9], v[10:11], s[0:1]
	v_fma_f64 v[12:13], v[10:11], s[0:1], -v[8:9]
	s_mov_b32 s9, 0x3c91a626
	v_fmac_f64_e32 v[12:13], s[8:9], v[10:11]
	v_fmac_f64_e32 v[12:13], s[0:1], v[6:7]
	v_add_f64 v[6:7], v[8:9], v[12:13]
	v_add_f64 v[8:9], v[6:7], -v[8:9]
	v_add_f64 v[8:9], v[12:13], -v[8:9]
	s_andn2_saveexec_b64 s[0:1], s[6:7]
	s_cbranch_execz .LBB7_219
	s_branch .LBB7_218
.LBB7_217:
	s_andn2_saveexec_b64 s[0:1], s[6:7]
	s_cbranch_execz .LBB7_219
.LBB7_218:
	s_mov_b32 s6, 0x6dc9c883
	s_mov_b32 s7, 0x3fe45f30
	v_mul_f64 v[6:7], |v[4:5]|, s[6:7]
	s_mov_b32 s6, 0x54442d18
	v_rndne_f64_e32 v[10:11], v[6:7]
	s_mov_b32 s7, 0xbff921fb
	v_fma_f64 v[6:7], v[10:11], s[6:7], |v[4:5]|
	s_mov_b32 s7, 0xbc91a626
	s_mov_b32 s6, 0x33145c00
	v_mul_f64 v[12:13], v[10:11], s[6:7]
	v_add_f64 v[16:17], v[6:7], v[12:13]
	v_fma_f64 v[8:9], s[6:7], v[10:11], v[6:7]
	s_mov_b32 s7, 0x3c91a626
	v_add_f64 v[6:7], v[6:7], -v[16:17]
	v_fma_f64 v[14:15], s[6:7], v[10:11], v[12:13]
	v_add_f64 v[6:7], v[6:7], v[12:13]
	v_add_f64 v[12:13], v[16:17], -v[8:9]
	v_add_f64 v[6:7], v[12:13], v[6:7]
	s_mov_b32 s6, 0x252049c0
	v_add_f64 v[12:13], v[6:7], -v[14:15]
	s_mov_b32 s7, 0xb97b839a
	v_fmac_f64_e32 v[12:13], s[6:7], v[10:11]
	v_add_f64 v[6:7], v[8:9], v[12:13]
	v_add_f64 v[8:9], v[6:7], -v[8:9]
	v_add_f64 v[8:9], v[12:13], -v[8:9]
	v_cvt_i32_f64_e32 v1, v[10:11]
.LBB7_219:
	s_or_b64 exec, exec, s[0:1]
                                        ; implicit-def: $vgpr23
                                        ; implicit-def: $vgpr10_vgpr11
                                        ; implicit-def: $vgpr12_vgpr13
	s_and_saveexec_b64 s[0:1], s[4:5]
	s_xor_b64 s[4:5], exec, s[0:1]
	s_cbranch_execz .LBB7_221
; %bb.220:
	s_mov_b32 s0, 0
	s_mov_b32 s1, 0x7b000000
	s_movk_i32 s6, 0xff80
	v_and_b32_e32 v16, 0x7fffffff, v5
	v_ldexp_f64 v[14:15], |v[4:5]|, s6
	v_cmp_ge_f64_e64 vcc, |v[4:5]|, s[0:1]
	v_trig_preop_f64 v[10:11], |v[4:5]|, 0
	v_trig_preop_f64 v[12:13], |v[4:5]|, 1
	v_cndmask_b32_e32 v15, v16, v15, vcc
	v_cndmask_b32_e32 v14, v4, v14, vcc
	v_mul_f64 v[18:19], v[10:11], v[14:15]
	v_mul_f64 v[16:17], v[12:13], v[14:15]
	v_fma_f64 v[10:11], v[10:11], v[14:15], -v[18:19]
	v_add_f64 v[20:21], v[16:17], v[10:11]
	v_add_f64 v[30:31], v[20:21], -v[16:17]
	v_add_f64 v[10:11], v[10:11], -v[30:31]
	;; [unrolled: 1-line block ×4, first 2 shown]
	v_fma_f64 v[12:13], v[12:13], v[14:15], -v[16:17]
	v_trig_preop_f64 v[16:17], |v[4:5]|, 2
	v_add_f64 v[10:11], v[10:11], v[30:31]
	v_mul_f64 v[30:31], v[16:17], v[14:15]
	v_add_f64 v[32:33], v[30:31], v[12:13]
	v_add_f64 v[24:25], v[18:19], v[20:21]
	;; [unrolled: 1-line block ×3, first 2 shown]
	v_ldexp_f64 v[26:27], v[24:25], -2
	v_add_f64 v[18:19], v[24:25], -v[18:19]
	v_add_f64 v[24:25], v[34:35], -v[32:33]
	;; [unrolled: 1-line block ×5, first 2 shown]
	v_add_f64 v[10:11], v[10:11], v[24:25]
	v_add_f64 v[24:25], v[32:33], -v[30:31]
	v_add_f64 v[12:13], v[12:13], -v[24:25]
	;; [unrolled: 1-line block ×4, first 2 shown]
	v_add_f64 v[12:13], v[12:13], v[24:25]
	s_mov_b32 s0, 0
	v_fract_f64_e32 v[28:29], v[26:27]
	v_add_f64 v[10:11], v[12:13], v[10:11]
	v_fma_f64 v[12:13], v[16:17], v[14:15], -v[30:31]
	s_mov_b32 s1, 0x7ff00000
	v_add_f64 v[18:19], v[20:21], -v[18:19]
	v_add_f64 v[10:11], v[12:13], v[10:11]
	v_ldexp_f64 v[12:13], v[28:29], 2
	v_cmp_neq_f64_e64 vcc, |v[26:27]|, s[0:1]
	v_add_f64 v[20:21], v[18:19], v[34:35]
	v_mov_b32_e32 v16, 0x40100000
	v_cndmask_b32_e32 v13, 0, v13, vcc
	v_cndmask_b32_e32 v12, 0, v12, vcc
	v_add_f64 v[14:15], v[20:21], v[12:13]
	v_cmp_gt_f64_e32 vcc, 0, v[14:15]
	v_mov_b32_e32 v14, 0
	v_add_f64 v[18:19], v[20:21], -v[18:19]
	v_cndmask_b32_e32 v15, 0, v16, vcc
	v_add_f64 v[12:13], v[12:13], v[14:15]
	v_add_f64 v[16:17], v[20:21], v[12:13]
	v_cvt_i32_f64_e32 v15, v[16:17]
	v_cvt_f64_i32_e32 v[16:17], v15
	v_add_f64 v[12:13], v[12:13], -v[16:17]
	v_add_f64 v[16:17], v[20:21], v[12:13]
	v_add_f64 v[18:19], v[34:35], -v[18:19]
	v_add_f64 v[12:13], v[16:17], -v[12:13]
	v_add_f64 v[10:11], v[18:19], v[10:11]
	v_add_f64 v[12:13], v[20:21], -v[12:13]
	v_add_f64 v[10:11], v[10:11], v[12:13]
	v_cmp_le_f64_e32 vcc, 0.5, v[16:17]
	v_mov_b32_e32 v12, 0x3ff00000
	s_mov_b32 s6, 0x33145c07
	v_addc_co_u32_e64 v23, s[0:1], 0, v15, vcc
	v_cndmask_b32_e32 v15, 0, v12, vcc
	v_add_f64 v[12:13], v[16:17], -v[14:15]
	v_add_f64 v[14:15], v[12:13], v[10:11]
	s_mov_b32 s0, 0x54442d18
	v_add_f64 v[12:13], v[14:15], -v[12:13]
	s_mov_b32 s1, 0x3ff921fb
	v_add_f64 v[10:11], v[10:11], -v[12:13]
	v_mul_f64 v[12:13], v[14:15], s[0:1]
	v_fma_f64 v[16:17], v[14:15], s[0:1], -v[12:13]
	s_mov_b32 s7, 0x3c91a626
	v_fmac_f64_e32 v[16:17], s[6:7], v[14:15]
	v_fmac_f64_e32 v[16:17], s[0:1], v[10:11]
	v_add_f64 v[10:11], v[12:13], v[16:17]
	v_add_f64 v[12:13], v[10:11], -v[12:13]
	v_add_f64 v[12:13], v[16:17], -v[12:13]
	s_andn2_saveexec_b64 s[0:1], s[4:5]
	s_cbranch_execnz .LBB7_222
	s_branch .LBB7_223
.LBB7_221:
	s_andn2_saveexec_b64 s[0:1], s[4:5]
	s_cbranch_execz .LBB7_223
.LBB7_222:
	s_mov_b32 s4, 0x6dc9c883
	s_mov_b32 s5, 0x3fe45f30
	v_mul_f64 v[10:11], |v[4:5]|, s[4:5]
	s_mov_b32 s4, 0x54442d18
	v_rndne_f64_e32 v[14:15], v[10:11]
	s_mov_b32 s5, 0xbff921fb
	v_fma_f64 v[10:11], v[14:15], s[4:5], |v[4:5]|
	s_mov_b32 s5, 0xbc91a626
	s_mov_b32 s4, 0x33145c00
	v_mul_f64 v[16:17], v[14:15], s[4:5]
	v_add_f64 v[20:21], v[10:11], v[16:17]
	v_fma_f64 v[12:13], s[4:5], v[14:15], v[10:11]
	s_mov_b32 s5, 0x3c91a626
	v_add_f64 v[10:11], v[10:11], -v[20:21]
	v_fma_f64 v[18:19], s[4:5], v[14:15], v[16:17]
	v_add_f64 v[10:11], v[10:11], v[16:17]
	v_add_f64 v[16:17], v[20:21], -v[12:13]
	v_add_f64 v[10:11], v[16:17], v[10:11]
	s_mov_b32 s4, 0x252049c0
	v_add_f64 v[16:17], v[10:11], -v[18:19]
	s_mov_b32 s5, 0xb97b839a
	v_fmac_f64_e32 v[16:17], s[4:5], v[14:15]
	v_add_f64 v[10:11], v[12:13], v[16:17]
	v_add_f64 v[12:13], v[10:11], -v[12:13]
	v_add_f64 v[12:13], v[16:17], -v[12:13]
	v_cvt_i32_f64_e32 v23, v[14:15]
.LBB7_223:
	s_or_b64 exec, exec, s[0:1]
	s_mov_b32 s0, 0
	s_mov_b32 s1, 0x40140000
	v_div_scale_f64 v[14:15], s[4:5], v[2:3], v[2:3], s[0:1]
	v_rcp_f64_e32 v[16:17], v[14:15]
	v_mov_b32_e32 v24, 0x5948aa83
	v_mov_b32_e32 v25, 0x3fb19fdd
	;; [unrolled: 1-line block ×3, first 2 shown]
	v_fma_f64 v[18:19], -v[14:15], v[16:17], 1.0
	v_fmac_f64_e32 v[16:17], v[16:17], v[18:19]
	v_fma_f64 v[18:19], -v[14:15], v[16:17], 1.0
	v_fmac_f64_e32 v[16:17], v[16:17], v[18:19]
	v_div_scale_f64 v[18:19], vcc, s[0:1], v[2:3], s[0:1]
	v_mul_f64 v[20:21], v[18:19], v[16:17]
	v_fma_f64 v[14:15], -v[14:15], v[20:21], v[18:19]
	v_mov_b32_e32 v27, 0x4013edb5
	s_nop 0
	v_div_fmas_f64 v[14:15], v[14:15], v[16:17], v[20:21]
	v_div_fixup_f64 v[14:15], v[14:15], v[2:3], s[0:1]
	v_mul_f64 v[18:19], v[14:15], v[14:15]
	v_mov_b32_e32 v16, 0x4c6c651b
	v_mov_b32_e32 v17, 0x3f48f92c
	v_fmac_f64_e32 v[16:17], 0, v[18:19]
	v_mov_b32_e32 v20, 0xa3fec4b6
	v_mov_b32_e32 v21, 0x3fb2b948
	v_fmac_f64_e32 v[20:21], v[18:19], v[16:17]
	;; [unrolled: 3-line block ×7, first 2 shown]
	v_fmac_f64_e32 v[24:25], v[18:19], v[16:17]
	v_mov_b32_e32 v16, 0xb850eed6
	v_mov_b32_e32 v17, 0x3ff1aea9
	v_fmac_f64_e32 v[16:17], v[18:19], v[24:25]
	v_mov_b32_e32 v24, 0xf7d251a1
	v_mov_b32_e32 v25, 0x40144ba2
	;; [unrolled: 3-line block ×5, first 2 shown]
	v_fmac_f64_e32 v[16:17], 0, v[18:19]
	v_fmac_f64_e32 v[26:27], v[18:19], v[16:17]
	v_mov_b32_e32 v16, 0x9acf1c67
	v_mov_b32_e32 v17, 0x4052f4b9
	v_fmac_f64_e32 v[16:17], v[18:19], v[26:27]
	v_mov_b32_e32 v26, 0x47aa180d
	v_mov_b32_e32 v27, 0x4076ec79
	;; [unrolled: 3-line block ×6, first 2 shown]
	v_mov_b32_e32 v26, 0x60895077
	v_mov_b32_e32 v27, 0x40528f30
	v_fmac_f64_e32 v[16:17], v[18:19], v[28:29]
	v_fmac_f64_e32 v[26:27], 0, v[18:19]
	v_mov_b32_e32 v28, 0xa20e5f6f
	v_mov_b32_e32 v29, 0x409081cb
	v_fmac_f64_e32 v[28:29], v[18:19], v[26:27]
	v_mov_b32_e32 v26, 0x1bfdfe81
	v_mov_b32_e32 v27, 0x40b37a69
	;; [unrolled: 3-line block ×5, first 2 shown]
	v_fma_f64 v[24:25], v[18:19], v[24:25], 1.0
	v_fmac_f64_e32 v[28:29], v[18:19], v[26:27]
	v_fma_f64 v[26:27], v[18:19], v[20:21], 1.0
	v_div_scale_f64 v[30:31], s[0:1], v[24:25], v[24:25], v[26:27]
	v_rcp_f64_e32 v[32:33], v[30:31]
	v_mov_b32_e32 v20, 0x6ae75997
	v_mov_b32_e32 v21, 0x4075017f
	v_fmac_f64_e32 v[20:21], v[18:19], v[28:29]
	v_fma_f64 v[18:19], -v[30:31], v[32:33], 1.0
	v_fmac_f64_e32 v[32:33], v[32:33], v[18:19]
	v_fma_f64 v[18:19], -v[30:31], v[32:33], 1.0
	v_fmac_f64_e32 v[32:33], v[32:33], v[18:19]
	v_div_scale_f64 v[18:19], vcc, v[26:27], v[24:25], v[26:27]
	v_mul_f64 v[28:29], v[18:19], v[32:33]
	v_fma_f64 v[18:19], -v[30:31], v[28:29], v[18:19]
	s_mov_b32 s0, 0x9037ab78
	s_nop 0
	v_div_fmas_f64 v[18:19], v[18:19], v[32:33], v[28:29]
	s_mov_b32 s1, 0x3e21eeb6
	s_mov_b32 s4, 0x46cc5e42
	v_div_fixup_f64 v[18:19], v[18:19], v[24:25], v[26:27]
	v_mul_f64 v[24:25], v[6:7], v[6:7]
	s_mov_b32 s5, 0xbda907db
	v_mov_b64_e32 v[32:33], s[0:1]
	s_mov_b32 s6, 0xa17f65f6
	v_mul_f64 v[26:27], v[24:25], 0.5
	v_fma_f64 v[34:35], s[4:5], v[24:25], v[32:33]
	s_mov_b32 s7, 0xbe927e4f
	s_mov_b32 s8, 0x19f4ec90
	v_add_f64 v[28:29], -v[26:27], 1.0
	v_fma_f64 v[34:35], v[24:25], v[34:35], s[6:7]
	s_mov_b32 s9, 0x3efa01a0
	s_mov_b32 s10, 0x16c16967
	v_add_f64 v[30:31], -v[28:29], 1.0
	v_fma_f64 v[34:35], v[24:25], v[34:35], s[8:9]
	s_mov_b32 s11, 0xbf56c16c
	s_mov_b32 s12, 0x55555555
	v_add_f64 v[26:27], v[30:31], -v[26:27]
	v_fma_f64 v[34:35], v[24:25], v[34:35], s[10:11]
	s_mov_b32 s13, 0x3fa55555
	v_mul_f64 v[30:31], v[24:25], v[24:25]
	v_fma_f64 v[34:35], v[24:25], v[34:35], s[12:13]
	v_fma_f64 v[26:27], v[6:7], -v[8:9], v[26:27]
	s_mov_b32 s0, 0xb42fdfa7
	v_fmac_f64_e32 v[26:27], v[30:31], v[34:35]
	s_mov_b32 s1, 0xbe5ae600
	s_mov_b32 s14, 0xf9a43bb8
	v_add_f64 v[26:27], v[28:29], v[26:27]
	s_mov_b32 s15, 0x3de5e0b2
	v_mov_b64_e32 v[28:29], s[0:1]
	s_mov_b32 s28, 0x796cde01
	v_fma_f64 v[30:31], s[14:15], v[24:25], v[28:29]
	s_mov_b32 s29, 0x3ec71de3
	s_mov_b32 s30, 0x19e83e5c
	v_fma_f64 v[30:31], v[24:25], v[30:31], s[28:29]
	s_mov_b32 s31, 0xbf2a01a0
	;; [unrolled: 3-line block ×3, first 2 shown]
	v_fma_f64 v[30:31], v[24:25], v[30:31], s[50:51]
	v_mul_f64 v[34:35], v[6:7], -v[24:25]
	v_mul_f64 v[36:37], v[8:9], 0.5
	v_fmac_f64_e32 v[36:37], v[34:35], v[30:31]
	v_fma_f64 v[8:9], v[24:25], v[36:37], -v[8:9]
	s_mov_b32 s53, 0xbfc55555
	s_mov_b32 s52, s12
	v_fmac_f64_e32 v[8:9], s[52:53], v[34:35]
	v_add_f64 v[6:7], v[6:7], -v[8:9]
	v_and_b32_e32 v8, 1, v1
	v_cmp_eq_u32_e32 vcc, 0, v8
	v_lshlrev_b32_e32 v1, 30, v1
	v_xor_b32_e32 v1, v1, v5
	v_cndmask_b32_e32 v24, v26, v6, vcc
	v_cndmask_b32_e32 v6, v27, v7, vcc
	s_brev_b32 s57, 1
	v_bitop3_b32 v1, v6, v1, s57 bitop3:0x78
	v_div_scale_f64 v[6:7], s[0:1], v[20:21], v[20:21], v[16:17]
	v_rcp_f64_e32 v[8:9], v[6:7]
	s_movk_i32 s58, 0x1f8
	v_cmp_class_f64_e64 s[0:1], v[4:5], s58
	v_mov_b32_e32 v30, 0x7ff80000
	s_nop 0
	v_cndmask_b32_e64 v4, 0, v24, s[0:1]
	v_fma_f64 v[24:25], -v[6:7], v[8:9], 1.0
	v_fmac_f64_e32 v[8:9], v[8:9], v[24:25]
	v_fma_f64 v[24:25], -v[6:7], v[8:9], 1.0
	v_fmac_f64_e32 v[8:9], v[8:9], v[24:25]
	v_div_scale_f64 v[24:25], vcc, v[16:17], v[20:21], v[16:17]
	v_mul_f64 v[26:27], v[24:25], v[8:9]
	v_fma_f64 v[6:7], -v[6:7], v[26:27], v[24:25]
	v_cndmask_b32_e64 v5, v30, v1, s[0:1]
	s_nop 0
	v_div_fmas_f64 v[6:7], v[6:7], v[8:9], v[26:27]
	v_div_fixup_f64 v[6:7], v[6:7], v[20:21], v[16:17]
	v_mul_f64 v[8:9], v[10:11], v[10:11]
	v_mul_f64 v[6:7], v[14:15], v[6:7]
	v_mul_f64 v[14:15], v[8:9], 0.5
	v_fmac_f64_e32 v[32:33], s[4:5], v[8:9]
	v_add_f64 v[16:17], -v[14:15], 1.0
	v_fma_f64 v[24:25], v[8:9], v[32:33], s[6:7]
	v_add_f64 v[20:21], -v[16:17], 1.0
	v_fma_f64 v[24:25], v[8:9], v[24:25], s[8:9]
	v_add_f64 v[14:15], v[20:21], -v[14:15]
	v_fma_f64 v[24:25], v[8:9], v[24:25], s[10:11]
	v_mul_f64 v[20:21], v[8:9], v[8:9]
	v_fma_f64 v[24:25], v[8:9], v[24:25], s[12:13]
	v_fma_f64 v[14:15], v[10:11], -v[12:13], v[14:15]
	v_fmac_f64_e32 v[14:15], v[20:21], v[24:25]
	v_fmac_f64_e32 v[28:29], s[14:15], v[8:9]
	v_add_f64 v[14:15], v[16:17], v[14:15]
	v_fma_f64 v[16:17], v[8:9], v[28:29], s[28:29]
	v_fma_f64 v[16:17], v[8:9], v[16:17], s[30:31]
	;; [unrolled: 1-line block ×3, first 2 shown]
	v_mul_f64 v[20:21], v[10:11], -v[8:9]
	v_mul_f64 v[24:25], v[12:13], 0.5
	v_fmac_f64_e32 v[24:25], v[20:21], v[16:17]
	v_fma_f64 v[8:9], v[8:9], v[24:25], -v[12:13]
	v_fmac_f64_e32 v[8:9], s[52:53], v[20:21]
	v_add_f64 v[8:9], v[10:11], -v[8:9]
	v_xor_b32_e32 v1, 0x80000000, v9
	v_and_b32_e32 v9, 1, v23
	v_cmp_eq_u32_e32 vcc, 0, v9
	v_lshlrev_b32_e32 v9, 30, v23
	s_nop 0
	v_cndmask_b32_e32 v1, v1, v15, vcc
	v_cndmask_b32_e32 v8, v8, v14, vcc
	v_bitop3_b32 v1, v1, v9, s57 bitop3:0x78
	v_cndmask_b32_e64 v8, 0, v8, s[0:1]
	v_cndmask_b32_e64 v9, v30, v1, s[0:1]
	s_mov_b32 s0, 0
	s_brev_b32 s1, 8
	v_mov_b32_e32 v1, 0x100
	v_cmp_gt_f64_e32 vcc, s[0:1], v[2:3]
	v_mul_f64 v[6:7], v[6:7], v[8:9]
	v_fmac_f64_e32 v[6:7], v[18:19], v[4:5]
	v_cndmask_b32_e32 v1, 0, v1, vcc
	v_ldexp_f64 v[2:3], v[2:3], v1
	v_rsq_f64_e32 v[4:5], v[2:3]
	v_mov_b32_e32 v1, 0xffffff80
	v_cndmask_b32_e32 v1, 0, v1, vcc
	s_mov_b32 s0, 0x33d43651
	v_mul_f64 v[8:9], v[2:3], v[4:5]
	v_mul_f64 v[4:5], v[4:5], 0.5
	v_fma_f64 v[10:11], -v[4:5], v[8:9], 0.5
	v_fmac_f64_e32 v[8:9], v[8:9], v[10:11]
	v_fma_f64 v[12:13], -v[8:9], v[8:9], v[2:3]
	v_fmac_f64_e32 v[4:5], v[4:5], v[10:11]
	v_fmac_f64_e32 v[8:9], v[12:13], v[4:5]
	v_fma_f64 v[10:11], -v[8:9], v[8:9], v[2:3]
	v_fmac_f64_e32 v[8:9], v[10:11], v[4:5]
	v_ldexp_f64 v[4:5], v[8:9], v1
	v_mov_b32_e32 v1, 0x260
	s_mov_b32 s1, 0x3fe98845
	v_cmp_class_f64_e32 vcc, v[2:3], v1
	v_mul_f64 v[6:7], v[6:7], s[0:1]
	s_nop 0
	v_cndmask_b32_e32 v3, v5, v3, vcc
	v_cndmask_b32_e32 v2, v4, v2, vcc
	v_div_scale_f64 v[4:5], s[0:1], v[2:3], v[2:3], v[6:7]
	v_rcp_f64_e32 v[8:9], v[4:5]
	s_nop 0
	v_fma_f64 v[10:11], -v[4:5], v[8:9], 1.0
	v_fmac_f64_e32 v[8:9], v[8:9], v[10:11]
	v_fma_f64 v[10:11], -v[4:5], v[8:9], 1.0
	v_fmac_f64_e32 v[8:9], v[8:9], v[10:11]
	v_div_scale_f64 v[10:11], vcc, v[6:7], v[2:3], v[6:7]
	v_mul_f64 v[12:13], v[10:11], v[8:9]
	v_fma_f64 v[4:5], -v[4:5], v[12:13], v[10:11]
	s_nop 1
	v_div_fmas_f64 v[4:5], v[4:5], v[8:9], v[12:13]
	v_div_fixup_f64 v[6:7], v[4:5], v[2:3], v[6:7]
.LBB7_224:
	s_or_b64 exec, exec, s[2:3]
	v_add_u32_e32 v22, 0x80, v22
	global_store_dwordx2 v0, v[6:7], s[16:17]
	s_or_b64 exec, exec, s[48:49]
	v_cmp_gt_i32_e32 vcc, s55, v22
	s_and_saveexec_b64 s[48:49], vcc
	s_cbranch_execz .LBB7_199
.LBB7_225:
	s_andn2_b64 vcc, exec, s[36:37]
	s_cbranch_vccnz .LBB7_231
; %bb.226:
	s_andn2_b64 vcc, exec, s[46:47]
	s_cbranch_vccnz .LBB7_232
; %bb.227:
	s_add_i32 s56, s56, 1
	s_cmp_eq_u32 s54, 2
	s_cbranch_scc1 .LBB7_233
; %bb.228:
	s_and_b32 s50, s56, 28
	s_mov_b32 s51, 0
	v_mov_b32_e32 v0, 0
	v_mov_b32_e32 v2, 0
	s_mov_b64 s[46:47], s[34:35]
	v_mov_b32_e32 v4, v22
.LBB7_229:                              ; =>This Inner Loop Header: Depth=1
	s_load_dwordx8 s[8:15], s[46:47], 0x4
	s_load_dwordx4 s[28:31], s[46:47], 0x24
	s_load_dwordx8 s[0:7], s[44:45], 0x0
	s_add_u32 s46, s46, 48
	s_addc_u32 s47, s47, 0
	s_waitcnt lgkmcnt(0)
	v_mul_hi_u32 v1, s9, v4
	v_add_u32_e32 v1, v4, v1
	v_lshrrev_b32_e32 v1, s10, v1
	v_mul_lo_u32 v3, v1, s8
	v_mul_hi_u32 v5, s12, v1
	v_sub_u32_e32 v3, v4, v3
	v_add_u32_e32 v4, v1, v5
	v_lshrrev_b32_e32 v4, s13, v4
	v_mul_lo_u32 v6, v4, s11
	v_mul_hi_u32 v7, s15, v4
	v_sub_u32_e32 v1, v1, v6
	v_add_u32_e32 v6, v4, v7
	v_mul_lo_u32 v5, v3, s1
	v_mul_lo_u32 v3, v3, s0
	;; [unrolled: 1-line block ×4, first 2 shown]
	v_lshrrev_b32_e32 v6, s28, v6
	v_add3_u32 v0, v3, v0, v1
	v_mul_hi_u32 v3, s30, v6
	v_add3_u32 v1, v5, v2, v7
	v_mul_lo_u32 v2, v6, s14
	v_add_u32_e32 v3, v6, v3
	v_sub_u32_e32 v2, v4, v2
	v_lshrrev_b32_e32 v4, s31, v3
	s_add_i32 s51, s51, 4
	v_mul_lo_u32 v3, v4, s29
	s_add_u32 s44, s44, 32
	v_sub_u32_e32 v3, v6, v3
	s_addc_u32 s45, s45, 0
	v_mul_lo_u32 v5, v2, s4
	v_mul_lo_u32 v2, v2, s5
	;; [unrolled: 1-line block ×4, first 2 shown]
	s_cmp_eq_u32 s50, s51
	v_add3_u32 v2, v2, v1, v3
	v_add3_u32 v0, v5, v0, v6
	s_cbranch_scc0 .LBB7_229
; %bb.230:
	v_mov_b32_e32 v1, v2
	s_branch .LBB7_234
.LBB7_231:
                                        ; implicit-def: $vgpr2
                                        ; implicit-def: $vgpr0
	s_branch .LBB7_238
.LBB7_232:
	v_mov_b32_e32 v2, 0
	v_mov_b32_e32 v0, 0
	s_branch .LBB7_237
.LBB7_233:
	v_mov_b32_e32 v0, 0
	s_mov_b32 s50, 0
	v_mov_b32_e32 v1, v0
                                        ; implicit-def: $vgpr2
	v_mov_b32_e32 v4, v22
.LBB7_234:
	s_and_b32 s4, s56, 3
	s_cmp_eq_u32 s4, 0
	s_cbranch_scc1 .LBB7_237
; %bb.235:
	s_lshl_b32 s0, s50, 3
	s_add_u32 s0, s34, s0
	s_addc_u32 s1, s35, 0
	s_add_u32 s0, s0, 0xc4
	s_addc_u32 s1, s1, 0
	s_mul_i32 s2, s50, 12
	s_add_u32 s2, s34, s2
	s_addc_u32 s3, s35, 0
.LBB7_236:                              ; =>This Inner Loop Header: Depth=1
	s_load_dwordx2 s[6:7], s[2:3], 0x4
	s_load_dword s5, s[2:3], 0xc
	s_load_dwordx2 s[8:9], s[0:1], 0x0
	v_mov_b32_e32 v2, v1
	s_add_u32 s2, s2, 12
	s_waitcnt lgkmcnt(0)
	v_mul_hi_u32 v1, s7, v4
	v_add_u32_e32 v1, v4, v1
	v_lshrrev_b32_e32 v1, s5, v1
	s_addc_u32 s3, s3, 0
	v_mul_lo_u32 v3, v1, s6
	s_add_u32 s0, s0, 8
	v_sub_u32_e32 v5, v4, v3
	s_addc_u32 s1, s1, 0
	s_add_i32 s4, s4, -1
	v_mov_b32_e32 v4, v1
	v_mad_u64_u32 v[2:3], s[6:7], v5, s9, v[2:3]
	v_mad_u64_u32 v[0:1], s[6:7], v5, s8, v[0:1]
	s_cmp_lg_u32 s4, 0
	v_mov_b32_e32 v1, v2
	s_cbranch_scc1 .LBB7_236
.LBB7_237:
	s_cbranch_execnz .LBB7_240
.LBB7_238:
	s_waitcnt lgkmcnt(0)
	v_mul_hi_u32 v0, s25, v22
	v_add_u32_e32 v0, v22, v0
	v_lshrrev_b32_e32 v1, s26, v0
	v_mul_lo_u32 v0, v1, s24
	v_sub_u32_e32 v0, v22, v0
	v_mul_lo_u32 v2, v0, s21
	s_andn2_b64 vcc, exec, s[42:43]
	v_mul_lo_u32 v0, v0, s20
	s_cbranch_vccnz .LBB7_240
; %bb.239:
	v_mul_hi_u32 v3, s40, v1
	v_add_u32_e32 v3, v1, v3
	v_lshrrev_b32_e32 v3, s41, v3
	v_mul_lo_u32 v3, v3, s27
	v_sub_u32_e32 v3, v1, v3
	v_mad_u64_u32 v[0:1], s[0:1], v3, s22, v[0:1]
	v_mad_u64_u32 v[2:3], s[0:1], v3, s23, v[2:3]
.LBB7_240:
	s_waitcnt lgkmcnt(0)
	global_load_dwordx2 v[2:3], v2, s[18:19]
	s_mov_b32 s0, 0
	s_mov_b32 s1, 0x40140000
                                        ; implicit-def: $vgpr6_vgpr7
	s_waitcnt vmcnt(0)
	v_cmp_ge_f64_e32 vcc, s[0:1], v[2:3]
	s_and_saveexec_b64 s[0:1], vcc
	s_xor_b64 s[0:1], exec, s[0:1]
	s_cbranch_execz .LBB7_246
; %bb.241:
	v_mov_b32_e32 v6, 0
	v_cmp_neq_f64_e32 vcc, 0, v[2:3]
	v_mov_b32_e32 v7, 0xfff00000
	s_and_saveexec_b64 s[2:3], vcc
	s_cbranch_execz .LBB7_245
; %bb.242:
	v_mov_b32_e32 v6, 0
	v_cmp_nge_f64_e32 vcc, 0, v[2:3]
	v_mov_b32_e32 v7, 0x7ff80000
	s_and_saveexec_b64 s[4:5], vcc
	s_cbranch_execz .LBB7_244
; %bb.243:
	v_mul_f64 v[4:5], v[2:3], v[2:3]
	v_mov_b32_e32 v6, 0x62f9b6c5
	v_mov_b32_e32 v7, 0x41d2d2be
	v_fmac_f64_e32 v[6:7], 0, v[4:5]
	v_mov_b32_e32 v8, 0x58836521
	v_mov_b32_e32 v9, 0xc262d72d
	v_fmac_f64_e32 v[8:9], v[4:5], v[6:7]
	;; [unrolled: 3-line block ×14, first 2 shown]
	v_div_scale_f64 v[6:7], s[6:7], v[10:11], v[10:11], v[8:9]
	v_rcp_f64_e32 v[12:13], v[6:7]
	v_mov_b32_e32 v18, 0xd438c6b
	v_mov_b32_e32 v19, 0x425a52ba
	;; [unrolled: 1-line block ×3, first 2 shown]
	v_fma_f64 v[14:15], -v[6:7], v[12:13], 1.0
	v_fmac_f64_e32 v[12:13], v[12:13], v[14:15]
	v_fma_f64 v[14:15], -v[6:7], v[12:13], 1.0
	v_fmac_f64_e32 v[12:13], v[12:13], v[14:15]
	v_div_scale_f64 v[14:15], vcc, v[8:9], v[10:11], v[8:9]
	v_mul_f64 v[16:17], v[14:15], v[12:13]
	v_fma_f64 v[6:7], -v[6:7], v[16:17], v[14:15]
	v_mov_b32_e32 v14, 0x4cda4fc5
	v_mov_b32_e32 v15, 0xc1cad23c
	v_fmac_f64_e32 v[14:15], 0, v[4:5]
	v_fmac_f64_e32 v[18:19], v[4:5], v[14:15]
	v_mov_b32_e32 v14, 0xe6ccf175
	v_mov_b32_e32 v15, 0xc2d08a92
	v_fmac_f64_e32 v[14:15], v[4:5], v[18:19]
	v_mov_b32_e32 v18, 0x1b7086e7
	v_mov_b32_e32 v19, 0x408366b1
	v_fmac_f64_e32 v[18:19], 0, v[4:5]
	v_mov_b32_e32 v21, 0x410f5eda
	v_fmac_f64_e32 v[20:21], v[4:5], v[18:19]
	v_mov_b32_e32 v18, 0xdc92a1b1
	v_mov_b32_e32 v19, 0x4193e954
	v_fmac_f64_e32 v[18:19], v[4:5], v[20:21]
	v_mov_b32_e32 v20, 0x7befeac1
	;; [unrolled: 3-line block ×7, first 2 shown]
	v_mov_b32_e32 v19, 0x432a2b42
	v_fmac_f64_e32 v[18:19], v[4:5], v[14:15]
	v_div_scale_f64 v[14:15], s[6:7], v[20:21], v[20:21], v[18:19]
	v_rcp_f64_e32 v[22:23], v[14:15]
	v_div_fmas_f64 v[4:5], v[6:7], v[12:13], v[16:17]
	v_div_fixup_f64 v[4:5], v[4:5], v[10:11], v[8:9]
	s_mov_b32 s6, 0x55555555
	v_fma_f64 v[6:7], -v[14:15], v[22:23], 1.0
	v_fmac_f64_e32 v[22:23], v[22:23], v[6:7]
	v_fma_f64 v[6:7], -v[14:15], v[22:23], 1.0
	v_fmac_f64_e32 v[22:23], v[22:23], v[6:7]
	v_div_scale_f64 v[6:7], vcc, v[18:19], v[20:21], v[18:19]
	v_mul_f64 v[8:9], v[6:7], v[22:23]
	v_fma_f64 v[6:7], -v[14:15], v[8:9], v[6:7]
	s_mov_b32 s7, 0x3fe55555
	s_nop 0
	v_div_fmas_f64 v[6:7], v[6:7], v[22:23], v[8:9]
	v_div_fixup_f64 v[6:7], v[6:7], v[20:21], v[18:19]
	v_mov_b32_e32 v8, 0x4189822c
	v_mov_b32_e32 v9, 0xc02d5d2b
	v_mul_f64 v[6:7], v[2:3], v[6:7]
	v_fmac_f64_e32 v[8:9], v[2:3], v[2:3]
	v_mul_f64 v[6:7], v[8:9], v[6:7]
	v_mov_b32_e32 v8, 0x6072a432
	v_mov_b32_e32 v9, 0xc0489bf6
	v_fmac_f64_e32 v[8:9], v[2:3], v[2:3]
	v_mul_f64 v[6:7], v[8:9], v[6:7]
	v_frexp_mant_f64_e32 v[8:9], v[2:3]
	v_cmp_gt_f64_e32 vcc, s[6:7], v[8:9]
	s_mov_b32 s6, 0xbf559e2b
	s_mov_b32 s7, 0x3fc3ab76
	v_cndmask_b32_e64 v10, 0, 1, vcc
	v_ldexp_f64 v[8:9], v[8:9], v10
	v_add_f64 v[10:11], v[8:9], 1.0
	v_rcp_f64_e32 v[12:13], v[10:11]
	v_add_f64 v[16:17], v[10:11], -1.0
	v_add_f64 v[14:15], v[8:9], -1.0
	v_add_f64 v[8:9], v[8:9], -v[16:17]
	v_fma_f64 v[16:17], -v[10:11], v[12:13], 1.0
	v_fmac_f64_e32 v[12:13], v[16:17], v[12:13]
	v_fma_f64 v[16:17], -v[10:11], v[12:13], 1.0
	v_fmac_f64_e32 v[12:13], v[16:17], v[12:13]
	v_mul_f64 v[16:17], v[14:15], v[12:13]
	v_mul_f64 v[18:19], v[10:11], v[16:17]
	v_fma_f64 v[10:11], v[16:17], v[10:11], -v[18:19]
	v_fmac_f64_e32 v[10:11], v[16:17], v[8:9]
	v_add_f64 v[8:9], v[18:19], v[10:11]
	v_add_f64 v[20:21], v[14:15], -v[8:9]
	v_add_f64 v[18:19], v[8:9], -v[18:19]
	;; [unrolled: 1-line block ×5, first 2 shown]
	v_add_f64 v[8:9], v[10:11], v[8:9]
	v_add_f64 v[8:9], v[20:21], v[8:9]
	v_mul_f64 v[8:9], v[12:13], v[8:9]
	v_add_f64 v[10:11], v[16:17], v[8:9]
	v_add_f64 v[12:13], v[10:11], -v[16:17]
	v_add_f64 v[8:9], v[8:9], -v[12:13]
	v_mul_f64 v[12:13], v[10:11], v[10:11]
	v_mov_b32_e32 v14, 0x6b47b09a
	v_mov_b32_e32 v15, 0x3fc38538
	v_fmac_f64_e32 v[14:15], s[6:7], v[12:13]
	v_mov_b32_e32 v16, 0xd7f4df2e
	v_mov_b32_e32 v17, 0x3fc7474d
	v_fmac_f64_e32 v[16:17], v[12:13], v[14:15]
	v_mov_b32_e32 v14, 0x16291751
	v_mov_b32_e32 v15, 0x3fcc71c0
	v_fmac_f64_e32 v[14:15], v[12:13], v[16:17]
	v_mov_b32_e32 v16, 0x9b27acf1
	v_mov_b32_e32 v17, 0x3fd24924
	v_fmac_f64_e32 v[16:17], v[12:13], v[14:15]
	v_mov_b32_e32 v14, 0x998ef7b6
	v_mov_b32_e32 v15, 0x3fd99999
	v_fmac_f64_e32 v[14:15], v[12:13], v[16:17]
	v_mov_b32_e32 v16, 0x55555780
	v_mov_b32_e32 v17, 0x3fe55555
	v_fmac_f64_e32 v[16:17], v[12:13], v[14:15]
	v_ldexp_f64 v[14:15], v[10:11], 1
	v_mul_f64 v[10:11], v[10:11], v[12:13]
	v_mul_f64 v[10:11], v[10:11], v[16:17]
	v_add_f64 v[12:13], v[14:15], v[10:11]
	v_add_f64 v[14:15], v[12:13], -v[14:15]
	v_ldexp_f64 v[8:9], v[8:9], 1
	v_add_f64 v[10:11], v[10:11], -v[14:15]
	v_add_f64 v[8:9], v[8:9], v[10:11]
	v_frexp_exp_i32_f64_e32 v1, v[2:3]
	v_add_f64 v[10:11], v[12:13], v[8:9]
	v_subbrev_co_u32_e32 v1, vcc, 0, v1, vcc
	v_add_f64 v[12:13], v[10:11], -v[12:13]
	s_mov_b32 s6, 0xfefa39ef
	v_add_f64 v[8:9], v[8:9], -v[12:13]
	v_cvt_f64_i32_e32 v[12:13], v1
	s_mov_b32 s7, 0x3fe62e42
	v_mul_f64 v[14:15], v[12:13], s[6:7]
	v_fma_f64 v[16:17], v[12:13], s[6:7], -v[14:15]
	s_mov_b32 s6, 0x3b39803f
	s_mov_b32 s7, 0x3c7abc9e
	v_fmac_f64_e32 v[16:17], s[6:7], v[12:13]
	v_add_f64 v[12:13], v[14:15], v[16:17]
	v_add_f64 v[14:15], v[12:13], -v[14:15]
	v_add_f64 v[14:15], v[16:17], -v[14:15]
	v_add_f64 v[16:17], v[12:13], v[10:11]
	v_add_f64 v[18:19], v[16:17], -v[12:13]
	v_add_f64 v[20:21], v[16:17], -v[18:19]
	v_add_f64 v[12:13], v[12:13], -v[20:21]
	v_add_f64 v[10:11], v[10:11], -v[18:19]
	v_add_f64 v[10:11], v[10:11], v[12:13]
	v_add_f64 v[12:13], v[14:15], v[8:9]
	v_add_f64 v[18:19], v[12:13], -v[14:15]
	v_add_f64 v[20:21], v[12:13], -v[18:19]
	v_add_f64 v[10:11], v[12:13], v[10:11]
	v_add_f64 v[14:15], v[14:15], -v[20:21]
	v_add_f64 v[8:9], v[8:9], -v[18:19]
	v_add_f64 v[12:13], v[16:17], v[10:11]
	v_add_f64 v[8:9], v[8:9], v[14:15]
	v_add_f64 v[14:15], v[12:13], -v[16:17]
	v_div_scale_f64 v[16:17], s[6:7], v[2:3], v[2:3], -1.0
	v_rcp_f64_e32 v[18:19], v[16:17]
	v_add_f64 v[10:11], v[10:11], -v[14:15]
	v_add_f64 v[8:9], v[8:9], v[10:11]
	v_add_f64 v[8:9], v[12:13], v[8:9]
	v_fma_f64 v[10:11], -v[16:17], v[18:19], 1.0
	v_fmac_f64_e32 v[18:19], v[18:19], v[10:11]
	v_fma_f64 v[10:11], -v[16:17], v[18:19], 1.0
	v_fmac_f64_e32 v[18:19], v[18:19], v[10:11]
	v_div_scale_f64 v[10:11], vcc, -1.0, v[2:3], -1.0
	v_mul_f64 v[12:13], v[10:11], v[18:19]
	v_fma_f64 v[10:11], -v[16:17], v[12:13], v[10:11]
	s_mov_b32 s6, 0x6dc9c883
	s_nop 0
	v_div_fmas_f64 v[10:11], v[10:11], v[18:19], v[12:13]
	v_div_fixup_f64 v[10:11], v[10:11], v[2:3], -1.0
	v_fmac_f64_e32 v[10:11], v[6:7], v[8:9]
	s_mov_b32 s7, 0x3fe45f30
	v_mul_f64 v[6:7], v[10:11], s[6:7]
	v_fmac_f64_e32 v[6:7], v[2:3], v[4:5]
.LBB7_244:
	s_or_b64 exec, exec, s[4:5]
.LBB7_245:
	s_or_b64 exec, exec, s[2:3]
                                        ; implicit-def: $vgpr2_vgpr3
.LBB7_246:
	s_andn2_saveexec_b64 s[2:3], s[0:1]
	s_cbranch_execz .LBB7_256
; %bb.247:
	s_mov_b32 s0, 0x7f3321d2
	s_mov_b32 s1, 0xc002d97c
	v_add_f64 v[4:5], v[2:3], s[0:1]
	s_mov_b32 s0, 0
	s_mov_b32 s1, 0x41d00000
	v_cmp_nlt_f64_e64 s[4:5], |v[4:5]|, s[0:1]
                                        ; implicit-def: $vgpr1
                                        ; implicit-def: $vgpr6_vgpr7
                                        ; implicit-def: $vgpr8_vgpr9
	s_and_saveexec_b64 s[0:1], s[4:5]
	s_xor_b64 s[6:7], exec, s[0:1]
	s_cbranch_execz .LBB7_249
; %bb.248:
	s_mov_b32 s0, 0
	s_mov_b32 s1, 0x7b000000
	s_movk_i32 s8, 0xff80
	v_and_b32_e32 v1, 0x7fffffff, v5
	v_ldexp_f64 v[10:11], |v[4:5]|, s8
	v_cmp_ge_f64_e64 vcc, |v[4:5]|, s[0:1]
	v_trig_preop_f64 v[6:7], |v[4:5]|, 0
	v_trig_preop_f64 v[8:9], |v[4:5]|, 1
	v_cndmask_b32_e32 v11, v1, v11, vcc
	v_cndmask_b32_e32 v10, v4, v10, vcc
	v_mul_f64 v[14:15], v[6:7], v[10:11]
	v_mul_f64 v[12:13], v[8:9], v[10:11]
	v_fma_f64 v[6:7], v[6:7], v[10:11], -v[14:15]
	v_add_f64 v[16:17], v[12:13], v[6:7]
	v_add_f64 v[24:25], v[16:17], -v[12:13]
	v_add_f64 v[6:7], v[6:7], -v[24:25]
	;; [unrolled: 1-line block ×4, first 2 shown]
	v_fma_f64 v[8:9], v[8:9], v[10:11], -v[12:13]
	v_trig_preop_f64 v[12:13], |v[4:5]|, 2
	v_add_f64 v[6:7], v[6:7], v[24:25]
	v_mul_f64 v[24:25], v[12:13], v[10:11]
	v_add_f64 v[26:27], v[24:25], v[8:9]
	v_add_f64 v[18:19], v[14:15], v[16:17]
	;; [unrolled: 1-line block ×3, first 2 shown]
	v_ldexp_f64 v[20:21], v[18:19], -2
	v_add_f64 v[14:15], v[18:19], -v[14:15]
	v_add_f64 v[18:19], v[28:29], -v[26:27]
	;; [unrolled: 1-line block ×5, first 2 shown]
	v_add_f64 v[6:7], v[6:7], v[18:19]
	v_add_f64 v[18:19], v[26:27], -v[24:25]
	v_add_f64 v[8:9], v[8:9], -v[18:19]
	;; [unrolled: 1-line block ×4, first 2 shown]
	v_add_f64 v[8:9], v[8:9], v[18:19]
	s_mov_b32 s0, 0
	v_fract_f64_e32 v[22:23], v[20:21]
	v_add_f64 v[6:7], v[8:9], v[6:7]
	v_fma_f64 v[8:9], v[12:13], v[10:11], -v[24:25]
	s_mov_b32 s1, 0x7ff00000
	v_add_f64 v[14:15], v[16:17], -v[14:15]
	v_add_f64 v[6:7], v[8:9], v[6:7]
	v_ldexp_f64 v[8:9], v[22:23], 2
	v_cmp_neq_f64_e64 vcc, |v[20:21]|, s[0:1]
	v_add_f64 v[16:17], v[14:15], v[28:29]
	v_mov_b32_e32 v1, 0x40100000
	v_cndmask_b32_e32 v9, 0, v9, vcc
	v_cndmask_b32_e32 v8, 0, v8, vcc
	v_add_f64 v[10:11], v[16:17], v[8:9]
	v_cmp_gt_f64_e32 vcc, 0, v[10:11]
	v_mov_b32_e32 v10, 0
	v_add_f64 v[14:15], v[16:17], -v[14:15]
	v_cndmask_b32_e32 v11, 0, v1, vcc
	v_add_f64 v[8:9], v[8:9], v[10:11]
	v_add_f64 v[12:13], v[16:17], v[8:9]
	v_cvt_i32_f64_e32 v1, v[12:13]
	v_cvt_f64_i32_e32 v[12:13], v1
	v_add_f64 v[8:9], v[8:9], -v[12:13]
	v_add_f64 v[12:13], v[16:17], v[8:9]
	v_add_f64 v[14:15], v[28:29], -v[14:15]
	v_add_f64 v[8:9], v[12:13], -v[8:9]
	v_add_f64 v[6:7], v[14:15], v[6:7]
	v_add_f64 v[8:9], v[16:17], -v[8:9]
	v_add_f64 v[6:7], v[6:7], v[8:9]
	v_cmp_le_f64_e32 vcc, 0.5, v[12:13]
	v_mov_b32_e32 v8, 0x3ff00000
	s_mov_b32 s8, 0x33145c07
	v_cndmask_b32_e32 v11, 0, v8, vcc
	v_addc_co_u32_e64 v1, s[0:1], 0, v1, vcc
	v_add_f64 v[8:9], v[12:13], -v[10:11]
	v_add_f64 v[10:11], v[8:9], v[6:7]
	s_mov_b32 s0, 0x54442d18
	v_add_f64 v[8:9], v[10:11], -v[8:9]
	s_mov_b32 s1, 0x3ff921fb
	v_add_f64 v[6:7], v[6:7], -v[8:9]
	v_mul_f64 v[8:9], v[10:11], s[0:1]
	v_fma_f64 v[12:13], v[10:11], s[0:1], -v[8:9]
	s_mov_b32 s9, 0x3c91a626
	v_fmac_f64_e32 v[12:13], s[8:9], v[10:11]
	v_fmac_f64_e32 v[12:13], s[0:1], v[6:7]
	v_add_f64 v[6:7], v[8:9], v[12:13]
	v_add_f64 v[8:9], v[6:7], -v[8:9]
	v_add_f64 v[8:9], v[12:13], -v[8:9]
	s_andn2_saveexec_b64 s[0:1], s[6:7]
	s_cbranch_execz .LBB7_251
	s_branch .LBB7_250
.LBB7_249:
	s_andn2_saveexec_b64 s[0:1], s[6:7]
	s_cbranch_execz .LBB7_251
.LBB7_250:
	s_mov_b32 s6, 0x6dc9c883
	s_mov_b32 s7, 0x3fe45f30
	v_mul_f64 v[6:7], |v[4:5]|, s[6:7]
	s_mov_b32 s6, 0x54442d18
	v_rndne_f64_e32 v[10:11], v[6:7]
	s_mov_b32 s7, 0xbff921fb
	v_fma_f64 v[6:7], v[10:11], s[6:7], |v[4:5]|
	s_mov_b32 s7, 0xbc91a626
	s_mov_b32 s6, 0x33145c00
	v_mul_f64 v[12:13], v[10:11], s[6:7]
	v_add_f64 v[16:17], v[6:7], v[12:13]
	v_fma_f64 v[8:9], s[6:7], v[10:11], v[6:7]
	s_mov_b32 s7, 0x3c91a626
	v_add_f64 v[6:7], v[6:7], -v[16:17]
	v_fma_f64 v[14:15], s[6:7], v[10:11], v[12:13]
	v_add_f64 v[6:7], v[6:7], v[12:13]
	v_add_f64 v[12:13], v[16:17], -v[8:9]
	v_add_f64 v[6:7], v[12:13], v[6:7]
	s_mov_b32 s6, 0x252049c0
	v_add_f64 v[12:13], v[6:7], -v[14:15]
	s_mov_b32 s7, 0xb97b839a
	v_fmac_f64_e32 v[12:13], s[6:7], v[10:11]
	v_add_f64 v[6:7], v[8:9], v[12:13]
	v_add_f64 v[8:9], v[6:7], -v[8:9]
	v_add_f64 v[8:9], v[12:13], -v[8:9]
	v_cvt_i32_f64_e32 v1, v[10:11]
.LBB7_251:
	s_or_b64 exec, exec, s[0:1]
                                        ; implicit-def: $vgpr22
                                        ; implicit-def: $vgpr10_vgpr11
                                        ; implicit-def: $vgpr12_vgpr13
	s_and_saveexec_b64 s[0:1], s[4:5]
	s_xor_b64 s[4:5], exec, s[0:1]
	s_cbranch_execz .LBB7_253
; %bb.252:
	s_mov_b32 s0, 0
	s_mov_b32 s1, 0x7b000000
	s_movk_i32 s6, 0xff80
	v_and_b32_e32 v16, 0x7fffffff, v5
	v_ldexp_f64 v[14:15], |v[4:5]|, s6
	v_cmp_ge_f64_e64 vcc, |v[4:5]|, s[0:1]
	v_trig_preop_f64 v[10:11], |v[4:5]|, 0
	v_trig_preop_f64 v[12:13], |v[4:5]|, 1
	v_cndmask_b32_e32 v15, v16, v15, vcc
	v_cndmask_b32_e32 v14, v4, v14, vcc
	v_mul_f64 v[18:19], v[10:11], v[14:15]
	v_mul_f64 v[16:17], v[12:13], v[14:15]
	v_fma_f64 v[10:11], v[10:11], v[14:15], -v[18:19]
	v_add_f64 v[20:21], v[16:17], v[10:11]
	v_add_f64 v[28:29], v[20:21], -v[16:17]
	v_add_f64 v[10:11], v[10:11], -v[28:29]
	;; [unrolled: 1-line block ×4, first 2 shown]
	v_fma_f64 v[12:13], v[12:13], v[14:15], -v[16:17]
	v_trig_preop_f64 v[16:17], |v[4:5]|, 2
	v_add_f64 v[10:11], v[10:11], v[28:29]
	v_mul_f64 v[28:29], v[16:17], v[14:15]
	v_add_f64 v[30:31], v[28:29], v[12:13]
	v_add_f64 v[22:23], v[18:19], v[20:21]
	;; [unrolled: 1-line block ×3, first 2 shown]
	v_ldexp_f64 v[24:25], v[22:23], -2
	v_add_f64 v[18:19], v[22:23], -v[18:19]
	v_add_f64 v[22:23], v[32:33], -v[30:31]
	;; [unrolled: 1-line block ×5, first 2 shown]
	v_add_f64 v[10:11], v[10:11], v[22:23]
	v_add_f64 v[22:23], v[30:31], -v[28:29]
	v_add_f64 v[12:13], v[12:13], -v[22:23]
	v_add_f64 v[22:23], v[30:31], -v[22:23]
	v_add_f64 v[22:23], v[28:29], -v[22:23]
	v_add_f64 v[12:13], v[12:13], v[22:23]
	s_mov_b32 s0, 0
	v_fract_f64_e32 v[26:27], v[24:25]
	v_add_f64 v[10:11], v[12:13], v[10:11]
	v_fma_f64 v[12:13], v[16:17], v[14:15], -v[28:29]
	s_mov_b32 s1, 0x7ff00000
	v_add_f64 v[18:19], v[20:21], -v[18:19]
	v_add_f64 v[10:11], v[12:13], v[10:11]
	v_ldexp_f64 v[12:13], v[26:27], 2
	v_cmp_neq_f64_e64 vcc, |v[24:25]|, s[0:1]
	v_add_f64 v[20:21], v[18:19], v[32:33]
	v_mov_b32_e32 v16, 0x40100000
	v_cndmask_b32_e32 v13, 0, v13, vcc
	v_cndmask_b32_e32 v12, 0, v12, vcc
	v_add_f64 v[14:15], v[20:21], v[12:13]
	v_cmp_gt_f64_e32 vcc, 0, v[14:15]
	v_mov_b32_e32 v14, 0
	v_add_f64 v[18:19], v[20:21], -v[18:19]
	v_cndmask_b32_e32 v15, 0, v16, vcc
	v_add_f64 v[12:13], v[12:13], v[14:15]
	v_add_f64 v[16:17], v[20:21], v[12:13]
	v_cvt_i32_f64_e32 v15, v[16:17]
	v_cvt_f64_i32_e32 v[16:17], v15
	v_add_f64 v[12:13], v[12:13], -v[16:17]
	v_add_f64 v[16:17], v[20:21], v[12:13]
	v_add_f64 v[18:19], v[32:33], -v[18:19]
	v_add_f64 v[12:13], v[16:17], -v[12:13]
	v_add_f64 v[10:11], v[18:19], v[10:11]
	v_add_f64 v[12:13], v[20:21], -v[12:13]
	v_add_f64 v[10:11], v[10:11], v[12:13]
	v_cmp_le_f64_e32 vcc, 0.5, v[16:17]
	v_mov_b32_e32 v12, 0x3ff00000
	s_mov_b32 s6, 0x33145c07
	v_addc_co_u32_e64 v22, s[0:1], 0, v15, vcc
	v_cndmask_b32_e32 v15, 0, v12, vcc
	v_add_f64 v[12:13], v[16:17], -v[14:15]
	v_add_f64 v[14:15], v[12:13], v[10:11]
	s_mov_b32 s0, 0x54442d18
	v_add_f64 v[12:13], v[14:15], -v[12:13]
	s_mov_b32 s1, 0x3ff921fb
	v_add_f64 v[10:11], v[10:11], -v[12:13]
	v_mul_f64 v[12:13], v[14:15], s[0:1]
	v_fma_f64 v[16:17], v[14:15], s[0:1], -v[12:13]
	s_mov_b32 s7, 0x3c91a626
	v_fmac_f64_e32 v[16:17], s[6:7], v[14:15]
	v_fmac_f64_e32 v[16:17], s[0:1], v[10:11]
	v_add_f64 v[10:11], v[12:13], v[16:17]
	v_add_f64 v[12:13], v[10:11], -v[12:13]
	v_add_f64 v[12:13], v[16:17], -v[12:13]
	s_andn2_saveexec_b64 s[0:1], s[4:5]
	s_cbranch_execnz .LBB7_254
	s_branch .LBB7_255
.LBB7_253:
	s_andn2_saveexec_b64 s[0:1], s[4:5]
	s_cbranch_execz .LBB7_255
.LBB7_254:
	s_mov_b32 s4, 0x6dc9c883
	s_mov_b32 s5, 0x3fe45f30
	v_mul_f64 v[10:11], |v[4:5]|, s[4:5]
	s_mov_b32 s4, 0x54442d18
	v_rndne_f64_e32 v[14:15], v[10:11]
	s_mov_b32 s5, 0xbff921fb
	v_fma_f64 v[10:11], v[14:15], s[4:5], |v[4:5]|
	s_mov_b32 s5, 0xbc91a626
	s_mov_b32 s4, 0x33145c00
	v_mul_f64 v[16:17], v[14:15], s[4:5]
	v_add_f64 v[20:21], v[10:11], v[16:17]
	v_fma_f64 v[12:13], s[4:5], v[14:15], v[10:11]
	s_mov_b32 s5, 0x3c91a626
	v_add_f64 v[10:11], v[10:11], -v[20:21]
	v_fma_f64 v[18:19], s[4:5], v[14:15], v[16:17]
	v_add_f64 v[10:11], v[10:11], v[16:17]
	v_add_f64 v[16:17], v[20:21], -v[12:13]
	v_add_f64 v[10:11], v[16:17], v[10:11]
	s_mov_b32 s4, 0x252049c0
	v_add_f64 v[16:17], v[10:11], -v[18:19]
	s_mov_b32 s5, 0xb97b839a
	v_fmac_f64_e32 v[16:17], s[4:5], v[14:15]
	v_add_f64 v[10:11], v[12:13], v[16:17]
	v_add_f64 v[12:13], v[10:11], -v[12:13]
	v_add_f64 v[12:13], v[16:17], -v[12:13]
	v_cvt_i32_f64_e32 v22, v[14:15]
.LBB7_255:
	s_or_b64 exec, exec, s[0:1]
	s_mov_b32 s0, 0
	s_mov_b32 s1, 0x40140000
	v_div_scale_f64 v[14:15], s[4:5], v[2:3], v[2:3], s[0:1]
	v_rcp_f64_e32 v[16:17], v[14:15]
	v_mov_b32_e32 v24, 0x5948aa83
	v_mov_b32_e32 v25, 0x3fb19fdd
	;; [unrolled: 1-line block ×3, first 2 shown]
	v_fma_f64 v[18:19], -v[14:15], v[16:17], 1.0
	v_fmac_f64_e32 v[16:17], v[16:17], v[18:19]
	v_fma_f64 v[18:19], -v[14:15], v[16:17], 1.0
	v_fmac_f64_e32 v[16:17], v[16:17], v[18:19]
	v_div_scale_f64 v[18:19], vcc, s[0:1], v[2:3], s[0:1]
	v_mul_f64 v[20:21], v[18:19], v[16:17]
	v_fma_f64 v[14:15], -v[14:15], v[20:21], v[18:19]
	v_mov_b32_e32 v27, 0x4013edb5
	s_nop 0
	v_div_fmas_f64 v[14:15], v[14:15], v[16:17], v[20:21]
	v_div_fixup_f64 v[14:15], v[14:15], v[2:3], s[0:1]
	v_mul_f64 v[18:19], v[14:15], v[14:15]
	v_mov_b32_e32 v16, 0x4c6c651b
	v_mov_b32_e32 v17, 0x3f48f92c
	v_fmac_f64_e32 v[16:17], 0, v[18:19]
	v_mov_b32_e32 v20, 0xa3fec4b6
	v_mov_b32_e32 v21, 0x3fb2b948
	v_fmac_f64_e32 v[20:21], v[18:19], v[16:17]
	;; [unrolled: 3-line block ×7, first 2 shown]
	v_fmac_f64_e32 v[24:25], v[18:19], v[16:17]
	v_mov_b32_e32 v16, 0xb850eed6
	v_mov_b32_e32 v17, 0x3ff1aea9
	v_fmac_f64_e32 v[16:17], v[18:19], v[24:25]
	v_mov_b32_e32 v24, 0xf7d251a1
	v_mov_b32_e32 v25, 0x40144ba2
	;; [unrolled: 3-line block ×5, first 2 shown]
	v_fmac_f64_e32 v[16:17], 0, v[18:19]
	v_fmac_f64_e32 v[26:27], v[18:19], v[16:17]
	v_mov_b32_e32 v16, 0x9acf1c67
	v_mov_b32_e32 v17, 0x4052f4b9
	v_fmac_f64_e32 v[16:17], v[18:19], v[26:27]
	v_mov_b32_e32 v26, 0x47aa180d
	v_mov_b32_e32 v27, 0x4076ec79
	;; [unrolled: 3-line block ×6, first 2 shown]
	v_mov_b32_e32 v26, 0x60895077
	v_mov_b32_e32 v27, 0x40528f30
	v_fmac_f64_e32 v[16:17], v[18:19], v[28:29]
	v_fmac_f64_e32 v[26:27], 0, v[18:19]
	v_mov_b32_e32 v28, 0xa20e5f6f
	v_mov_b32_e32 v29, 0x409081cb
	v_fmac_f64_e32 v[28:29], v[18:19], v[26:27]
	v_mov_b32_e32 v26, 0x1bfdfe81
	v_mov_b32_e32 v27, 0x40b37a69
	;; [unrolled: 3-line block ×5, first 2 shown]
	v_fma_f64 v[24:25], v[18:19], v[24:25], 1.0
	v_fmac_f64_e32 v[28:29], v[18:19], v[26:27]
	v_fma_f64 v[26:27], v[18:19], v[20:21], 1.0
	v_div_scale_f64 v[30:31], s[0:1], v[24:25], v[24:25], v[26:27]
	v_rcp_f64_e32 v[32:33], v[30:31]
	v_mov_b32_e32 v20, 0x6ae75997
	v_mov_b32_e32 v21, 0x4075017f
	v_fmac_f64_e32 v[20:21], v[18:19], v[28:29]
	v_fma_f64 v[18:19], -v[30:31], v[32:33], 1.0
	v_fmac_f64_e32 v[32:33], v[32:33], v[18:19]
	v_fma_f64 v[18:19], -v[30:31], v[32:33], 1.0
	v_fmac_f64_e32 v[32:33], v[32:33], v[18:19]
	v_div_scale_f64 v[18:19], vcc, v[26:27], v[24:25], v[26:27]
	v_mul_f64 v[28:29], v[18:19], v[32:33]
	v_fma_f64 v[18:19], -v[30:31], v[28:29], v[18:19]
	s_mov_b32 s0, 0x9037ab78
	s_nop 0
	v_div_fmas_f64 v[18:19], v[18:19], v[32:33], v[28:29]
	s_mov_b32 s1, 0x3e21eeb6
	s_mov_b32 s4, 0x46cc5e42
	v_div_fixup_f64 v[18:19], v[18:19], v[24:25], v[26:27]
	v_mul_f64 v[24:25], v[6:7], v[6:7]
	s_mov_b32 s5, 0xbda907db
	v_mov_b64_e32 v[32:33], s[0:1]
	s_mov_b32 s6, 0xa17f65f6
	v_mul_f64 v[26:27], v[24:25], 0.5
	v_fma_f64 v[34:35], s[4:5], v[24:25], v[32:33]
	s_mov_b32 s7, 0xbe927e4f
	s_mov_b32 s8, 0x19f4ec90
	v_add_f64 v[28:29], -v[26:27], 1.0
	v_fma_f64 v[34:35], v[24:25], v[34:35], s[6:7]
	s_mov_b32 s9, 0x3efa01a0
	s_mov_b32 s10, 0x16c16967
	v_add_f64 v[30:31], -v[28:29], 1.0
	v_fma_f64 v[34:35], v[24:25], v[34:35], s[8:9]
	s_mov_b32 s11, 0xbf56c16c
	s_mov_b32 s12, 0x55555555
	v_add_f64 v[26:27], v[30:31], -v[26:27]
	v_fma_f64 v[34:35], v[24:25], v[34:35], s[10:11]
	s_mov_b32 s13, 0x3fa55555
	v_mul_f64 v[30:31], v[24:25], v[24:25]
	v_fma_f64 v[34:35], v[24:25], v[34:35], s[12:13]
	v_fma_f64 v[26:27], v[6:7], -v[8:9], v[26:27]
	s_mov_b32 s0, 0xb42fdfa7
	v_fmac_f64_e32 v[26:27], v[30:31], v[34:35]
	s_mov_b32 s1, 0xbe5ae600
	s_mov_b32 s14, 0xf9a43bb8
	v_add_f64 v[26:27], v[28:29], v[26:27]
	s_mov_b32 s15, 0x3de5e0b2
	v_mov_b64_e32 v[28:29], s[0:1]
	s_mov_b32 s18, 0x796cde01
	v_fma_f64 v[30:31], s[14:15], v[24:25], v[28:29]
	s_mov_b32 s19, 0x3ec71de3
	s_mov_b32 s20, 0x19e83e5c
	v_fma_f64 v[30:31], v[24:25], v[30:31], s[18:19]
	s_mov_b32 s21, 0xbf2a01a0
	;; [unrolled: 3-line block ×3, first 2 shown]
	v_fma_f64 v[30:31], v[24:25], v[30:31], s[22:23]
	v_mul_f64 v[34:35], v[6:7], -v[24:25]
	v_mul_f64 v[36:37], v[8:9], 0.5
	v_fmac_f64_e32 v[36:37], v[34:35], v[30:31]
	v_fma_f64 v[8:9], v[24:25], v[36:37], -v[8:9]
	s_mov_b32 s25, 0xbfc55555
	s_mov_b32 s24, s12
	v_fmac_f64_e32 v[8:9], s[24:25], v[34:35]
	v_add_f64 v[6:7], v[6:7], -v[8:9]
	v_and_b32_e32 v8, 1, v1
	v_cmp_eq_u32_e32 vcc, 0, v8
	v_lshlrev_b32_e32 v1, 30, v1
	v_xor_b32_e32 v1, v1, v5
	v_cndmask_b32_e32 v23, v26, v6, vcc
	v_cndmask_b32_e32 v6, v27, v7, vcc
	s_brev_b32 s26, 1
	v_bitop3_b32 v1, v6, v1, s26 bitop3:0x78
	v_div_scale_f64 v[6:7], s[0:1], v[20:21], v[20:21], v[16:17]
	v_rcp_f64_e32 v[8:9], v[6:7]
	s_movk_i32 s27, 0x1f8
	v_cmp_class_f64_e64 s[0:1], v[4:5], s27
	v_fma_f64 v[24:25], -v[6:7], v[8:9], 1.0
	v_fmac_f64_e32 v[8:9], v[8:9], v[24:25]
	v_fma_f64 v[24:25], -v[6:7], v[8:9], 1.0
	v_fmac_f64_e32 v[8:9], v[8:9], v[24:25]
	v_div_scale_f64 v[24:25], vcc, v[16:17], v[20:21], v[16:17]
	v_mul_f64 v[26:27], v[24:25], v[8:9]
	v_fma_f64 v[6:7], -v[6:7], v[26:27], v[24:25]
	v_cndmask_b32_e64 v4, 0, v23, s[0:1]
	s_nop 0
	v_div_fmas_f64 v[6:7], v[6:7], v[8:9], v[26:27]
	v_div_fixup_f64 v[6:7], v[6:7], v[20:21], v[16:17]
	v_mul_f64 v[8:9], v[10:11], v[10:11]
	v_mul_f64 v[6:7], v[14:15], v[6:7]
	v_mul_f64 v[14:15], v[8:9], 0.5
	v_fmac_f64_e32 v[32:33], s[4:5], v[8:9]
	v_add_f64 v[16:17], -v[14:15], 1.0
	v_fma_f64 v[24:25], v[8:9], v[32:33], s[6:7]
	v_add_f64 v[20:21], -v[16:17], 1.0
	v_fma_f64 v[24:25], v[8:9], v[24:25], s[8:9]
	v_add_f64 v[14:15], v[20:21], -v[14:15]
	v_fma_f64 v[24:25], v[8:9], v[24:25], s[10:11]
	v_mul_f64 v[20:21], v[8:9], v[8:9]
	v_fma_f64 v[24:25], v[8:9], v[24:25], s[12:13]
	v_fma_f64 v[14:15], v[10:11], -v[12:13], v[14:15]
	v_fmac_f64_e32 v[14:15], v[20:21], v[24:25]
	v_fmac_f64_e32 v[28:29], s[14:15], v[8:9]
	v_add_f64 v[14:15], v[16:17], v[14:15]
	v_fma_f64 v[16:17], v[8:9], v[28:29], s[18:19]
	v_fma_f64 v[16:17], v[8:9], v[16:17], s[20:21]
	;; [unrolled: 1-line block ×3, first 2 shown]
	v_mul_f64 v[20:21], v[10:11], -v[8:9]
	v_mul_f64 v[24:25], v[12:13], 0.5
	v_fmac_f64_e32 v[24:25], v[20:21], v[16:17]
	v_fma_f64 v[8:9], v[8:9], v[24:25], -v[12:13]
	v_fmac_f64_e32 v[8:9], s[24:25], v[20:21]
	v_mov_b32_e32 v23, 0x7ff80000
	v_add_f64 v[8:9], v[10:11], -v[8:9]
	v_cndmask_b32_e64 v5, v23, v1, s[0:1]
	v_xor_b32_e32 v1, 0x80000000, v9
	v_and_b32_e32 v9, 1, v22
	v_cmp_eq_u32_e32 vcc, 0, v9
	v_lshlrev_b32_e32 v9, 30, v22
	s_nop 0
	v_cndmask_b32_e32 v1, v1, v15, vcc
	v_cndmask_b32_e32 v8, v8, v14, vcc
	v_bitop3_b32 v1, v1, v9, s26 bitop3:0x78
	v_cndmask_b32_e64 v8, 0, v8, s[0:1]
	v_cndmask_b32_e64 v9, v23, v1, s[0:1]
	s_mov_b32 s0, 0
	s_brev_b32 s1, 8
	v_mov_b32_e32 v1, 0x100
	v_cmp_gt_f64_e32 vcc, s[0:1], v[2:3]
	v_mul_f64 v[6:7], v[6:7], v[8:9]
	v_fmac_f64_e32 v[6:7], v[18:19], v[4:5]
	v_cndmask_b32_e32 v1, 0, v1, vcc
	v_ldexp_f64 v[2:3], v[2:3], v1
	v_rsq_f64_e32 v[4:5], v[2:3]
	v_mov_b32_e32 v1, 0xffffff80
	v_cndmask_b32_e32 v1, 0, v1, vcc
	s_mov_b32 s0, 0x33d43651
	v_mul_f64 v[8:9], v[2:3], v[4:5]
	v_mul_f64 v[4:5], v[4:5], 0.5
	v_fma_f64 v[10:11], -v[4:5], v[8:9], 0.5
	v_fmac_f64_e32 v[8:9], v[8:9], v[10:11]
	v_fma_f64 v[12:13], -v[8:9], v[8:9], v[2:3]
	v_fmac_f64_e32 v[4:5], v[4:5], v[10:11]
	v_fmac_f64_e32 v[8:9], v[12:13], v[4:5]
	v_fma_f64 v[10:11], -v[8:9], v[8:9], v[2:3]
	v_fmac_f64_e32 v[8:9], v[10:11], v[4:5]
	v_ldexp_f64 v[4:5], v[8:9], v1
	v_mov_b32_e32 v1, 0x260
	s_mov_b32 s1, 0x3fe98845
	v_cmp_class_f64_e32 vcc, v[2:3], v1
	v_mul_f64 v[6:7], v[6:7], s[0:1]
	s_nop 0
	v_cndmask_b32_e32 v3, v5, v3, vcc
	v_cndmask_b32_e32 v2, v4, v2, vcc
	v_div_scale_f64 v[4:5], s[0:1], v[2:3], v[2:3], v[6:7]
	v_rcp_f64_e32 v[8:9], v[4:5]
	s_nop 0
	v_fma_f64 v[10:11], -v[4:5], v[8:9], 1.0
	v_fmac_f64_e32 v[8:9], v[8:9], v[10:11]
	v_fma_f64 v[10:11], -v[4:5], v[8:9], 1.0
	v_fmac_f64_e32 v[8:9], v[8:9], v[10:11]
	v_div_scale_f64 v[10:11], vcc, v[6:7], v[2:3], v[6:7]
	v_mul_f64 v[12:13], v[10:11], v[8:9]
	v_fma_f64 v[4:5], -v[4:5], v[12:13], v[10:11]
	s_nop 1
	v_div_fmas_f64 v[4:5], v[4:5], v[8:9], v[12:13]
	v_div_fixup_f64 v[6:7], v[4:5], v[2:3], v[6:7]
.LBB7_256:
	s_or_b64 exec, exec, s[2:3]
	global_store_dwordx2 v0, v[6:7], s[16:17]
	s_or_b64 exec, exec, s[48:49]
                                        ; implicit-def: $vgpr16
                                        ; implicit-def: $vgpr22
	s_andn2_saveexec_b64 s[0:1], s[38:39]
	s_cbranch_execz .LBB7_200
	s_branch .LBB7_9
	.section	.rodata,"a",@progbits
	.p2align	6, 0x0
	.amdhsa_kernel _ZN2at6native32elementwise_kernel_manual_unrollILi128ELi4EZNS0_22gpu_kernel_impl_nocastIZZZNS0_12_GLOBAL__N_121bessel_y1_kernel_cudaERNS_18TensorIteratorBaseEENKUlvE_clEvENKUlvE_clEvEUldE_EEvS5_RKT_EUlibE_EEviT1_
		.amdhsa_group_segment_fixed_size 0
		.amdhsa_private_segment_fixed_size 0
		.amdhsa_kernarg_size 360
		.amdhsa_user_sgpr_count 2
		.amdhsa_user_sgpr_dispatch_ptr 0
		.amdhsa_user_sgpr_queue_ptr 0
		.amdhsa_user_sgpr_kernarg_segment_ptr 1
		.amdhsa_user_sgpr_dispatch_id 0
		.amdhsa_user_sgpr_kernarg_preload_length 0
		.amdhsa_user_sgpr_kernarg_preload_offset 0
		.amdhsa_user_sgpr_private_segment_size 0
		.amdhsa_uses_dynamic_stack 0
		.amdhsa_enable_private_segment 0
		.amdhsa_system_sgpr_workgroup_id_x 1
		.amdhsa_system_sgpr_workgroup_id_y 0
		.amdhsa_system_sgpr_workgroup_id_z 0
		.amdhsa_system_sgpr_workgroup_info 0
		.amdhsa_system_vgpr_workitem_id 0
		.amdhsa_next_free_vgpr 48
		.amdhsa_next_free_sgpr 60
		.amdhsa_accum_offset 48
		.amdhsa_reserve_vcc 1
		.amdhsa_float_round_mode_32 0
		.amdhsa_float_round_mode_16_64 0
		.amdhsa_float_denorm_mode_32 3
		.amdhsa_float_denorm_mode_16_64 3
		.amdhsa_dx10_clamp 1
		.amdhsa_ieee_mode 1
		.amdhsa_fp16_overflow 0
		.amdhsa_tg_split 0
		.amdhsa_exception_fp_ieee_invalid_op 0
		.amdhsa_exception_fp_denorm_src 0
		.amdhsa_exception_fp_ieee_div_zero 0
		.amdhsa_exception_fp_ieee_overflow 0
		.amdhsa_exception_fp_ieee_underflow 0
		.amdhsa_exception_fp_ieee_inexact 0
		.amdhsa_exception_int_div_zero 0
	.end_amdhsa_kernel
	.section	.text._ZN2at6native32elementwise_kernel_manual_unrollILi128ELi4EZNS0_22gpu_kernel_impl_nocastIZZZNS0_12_GLOBAL__N_121bessel_y1_kernel_cudaERNS_18TensorIteratorBaseEENKUlvE_clEvENKUlvE_clEvEUldE_EEvS5_RKT_EUlibE_EEviT1_,"axG",@progbits,_ZN2at6native32elementwise_kernel_manual_unrollILi128ELi4EZNS0_22gpu_kernel_impl_nocastIZZZNS0_12_GLOBAL__N_121bessel_y1_kernel_cudaERNS_18TensorIteratorBaseEENKUlvE_clEvENKUlvE_clEvEUldE_EEvS5_RKT_EUlibE_EEviT1_,comdat
.Lfunc_end7:
	.size	_ZN2at6native32elementwise_kernel_manual_unrollILi128ELi4EZNS0_22gpu_kernel_impl_nocastIZZZNS0_12_GLOBAL__N_121bessel_y1_kernel_cudaERNS_18TensorIteratorBaseEENKUlvE_clEvENKUlvE_clEvEUldE_EEvS5_RKT_EUlibE_EEviT1_, .Lfunc_end7-_ZN2at6native32elementwise_kernel_manual_unrollILi128ELi4EZNS0_22gpu_kernel_impl_nocastIZZZNS0_12_GLOBAL__N_121bessel_y1_kernel_cudaERNS_18TensorIteratorBaseEENKUlvE_clEvENKUlvE_clEvEUldE_EEvS5_RKT_EUlibE_EEviT1_
                                        ; -- End function
	.set _ZN2at6native32elementwise_kernel_manual_unrollILi128ELi4EZNS0_22gpu_kernel_impl_nocastIZZZNS0_12_GLOBAL__N_121bessel_y1_kernel_cudaERNS_18TensorIteratorBaseEENKUlvE_clEvENKUlvE_clEvEUldE_EEvS5_RKT_EUlibE_EEviT1_.num_vgpr, 48
	.set _ZN2at6native32elementwise_kernel_manual_unrollILi128ELi4EZNS0_22gpu_kernel_impl_nocastIZZZNS0_12_GLOBAL__N_121bessel_y1_kernel_cudaERNS_18TensorIteratorBaseEENKUlvE_clEvENKUlvE_clEvEUldE_EEvS5_RKT_EUlibE_EEviT1_.num_agpr, 0
	.set _ZN2at6native32elementwise_kernel_manual_unrollILi128ELi4EZNS0_22gpu_kernel_impl_nocastIZZZNS0_12_GLOBAL__N_121bessel_y1_kernel_cudaERNS_18TensorIteratorBaseEENKUlvE_clEvENKUlvE_clEvEUldE_EEvS5_RKT_EUlibE_EEviT1_.numbered_sgpr, 60
	.set _ZN2at6native32elementwise_kernel_manual_unrollILi128ELi4EZNS0_22gpu_kernel_impl_nocastIZZZNS0_12_GLOBAL__N_121bessel_y1_kernel_cudaERNS_18TensorIteratorBaseEENKUlvE_clEvENKUlvE_clEvEUldE_EEvS5_RKT_EUlibE_EEviT1_.num_named_barrier, 0
	.set _ZN2at6native32elementwise_kernel_manual_unrollILi128ELi4EZNS0_22gpu_kernel_impl_nocastIZZZNS0_12_GLOBAL__N_121bessel_y1_kernel_cudaERNS_18TensorIteratorBaseEENKUlvE_clEvENKUlvE_clEvEUldE_EEvS5_RKT_EUlibE_EEviT1_.private_seg_size, 0
	.set _ZN2at6native32elementwise_kernel_manual_unrollILi128ELi4EZNS0_22gpu_kernel_impl_nocastIZZZNS0_12_GLOBAL__N_121bessel_y1_kernel_cudaERNS_18TensorIteratorBaseEENKUlvE_clEvENKUlvE_clEvEUldE_EEvS5_RKT_EUlibE_EEviT1_.uses_vcc, 1
	.set _ZN2at6native32elementwise_kernel_manual_unrollILi128ELi4EZNS0_22gpu_kernel_impl_nocastIZZZNS0_12_GLOBAL__N_121bessel_y1_kernel_cudaERNS_18TensorIteratorBaseEENKUlvE_clEvENKUlvE_clEvEUldE_EEvS5_RKT_EUlibE_EEviT1_.uses_flat_scratch, 0
	.set _ZN2at6native32elementwise_kernel_manual_unrollILi128ELi4EZNS0_22gpu_kernel_impl_nocastIZZZNS0_12_GLOBAL__N_121bessel_y1_kernel_cudaERNS_18TensorIteratorBaseEENKUlvE_clEvENKUlvE_clEvEUldE_EEvS5_RKT_EUlibE_EEviT1_.has_dyn_sized_stack, 0
	.set _ZN2at6native32elementwise_kernel_manual_unrollILi128ELi4EZNS0_22gpu_kernel_impl_nocastIZZZNS0_12_GLOBAL__N_121bessel_y1_kernel_cudaERNS_18TensorIteratorBaseEENKUlvE_clEvENKUlvE_clEvEUldE_EEvS5_RKT_EUlibE_EEviT1_.has_recursion, 0
	.set _ZN2at6native32elementwise_kernel_manual_unrollILi128ELi4EZNS0_22gpu_kernel_impl_nocastIZZZNS0_12_GLOBAL__N_121bessel_y1_kernel_cudaERNS_18TensorIteratorBaseEENKUlvE_clEvENKUlvE_clEvEUldE_EEvS5_RKT_EUlibE_EEviT1_.has_indirect_call, 0
	.section	.AMDGPU.csdata,"",@progbits
; Kernel info:
; codeLenInByte = 46748
; TotalNumSgprs: 66
; NumVgprs: 48
; NumAgprs: 0
; TotalNumVgprs: 48
; ScratchSize: 0
; MemoryBound: 0
; FloatMode: 240
; IeeeMode: 1
; LDSByteSize: 0 bytes/workgroup (compile time only)
; SGPRBlocks: 8
; VGPRBlocks: 5
; NumSGPRsForWavesPerEU: 66
; NumVGPRsForWavesPerEU: 48
; AccumOffset: 48
; Occupancy: 8
; WaveLimiterHint : 1
; COMPUTE_PGM_RSRC2:SCRATCH_EN: 0
; COMPUTE_PGM_RSRC2:USER_SGPR: 2
; COMPUTE_PGM_RSRC2:TRAP_HANDLER: 0
; COMPUTE_PGM_RSRC2:TGID_X_EN: 1
; COMPUTE_PGM_RSRC2:TGID_Y_EN: 0
; COMPUTE_PGM_RSRC2:TGID_Z_EN: 0
; COMPUTE_PGM_RSRC2:TIDIG_COMP_CNT: 0
; COMPUTE_PGM_RSRC3_GFX90A:ACCUM_OFFSET: 11
; COMPUTE_PGM_RSRC3_GFX90A:TG_SPLIT: 0
	.text
	.p2align	2                               ; -- Begin function _ZN2at6native6invokeIZZZNS0_12_GLOBAL__N_121bessel_y1_kernel_cudaERNS_18TensorIteratorBaseEENKUlvE_clEvENKUlvE_clEvEUldE_i15function_traitsIS7_EEENT1_11result_typeERKT_PrKPcPKT0_PKN3c1010ScalarTypeEi
	.type	_ZN2at6native6invokeIZZZNS0_12_GLOBAL__N_121bessel_y1_kernel_cudaERNS_18TensorIteratorBaseEENKUlvE_clEvENKUlvE_clEvEUldE_i15function_traitsIS7_EEENT1_11result_typeERKT_PrKPcPKT0_PKN3c1010ScalarTypeEi,@function
_ZN2at6native6invokeIZZZNS0_12_GLOBAL__N_121bessel_y1_kernel_cudaERNS_18TensorIteratorBaseEENKUlvE_clEvENKUlvE_clEvEUldE_i15function_traitsIS7_EEENT1_11result_typeERKT_PrKPcPKT0_PKN3c1010ScalarTypeEi: ; @_ZN2at6native6invokeIZZZNS0_12_GLOBAL__N_121bessel_y1_kernel_cudaERNS_18TensorIteratorBaseEENKUlvE_clEvENKUlvE_clEvEUldE_i15function_traitsIS7_EEENT1_11result_typeERKT_PrKPcPKT0_PKN3c1010ScalarTypeEi
; %bb.0:
	s_waitcnt vmcnt(0) expcnt(0) lgkmcnt(0)
	v_mul_lo_u32 v4, v4, v2
	v_ashrrev_i32_e32 v5, 31, v4
	v_mov_b32_e32 v2, 10
	v_lshl_add_u64 v[0:1], v[0:1], 0, v[4:5]
	v_cmp_gt_i16_sdwa s[0:1], v3, v2 src0_sel:BYTE_0 src1_sel:DWORD
	s_mov_b64 s[4:5], 0
                                        ; implicit-def: $vgpr4_vgpr5
	s_and_saveexec_b64 s[2:3], s[0:1]
	s_xor_b64 s[0:1], exec, s[2:3]
	s_cbranch_execz .LBB8_51
; %bb.1:
	v_mov_b32_e32 v2, 25
	v_cmp_gt_i16_sdwa s[6:7], v3, v2 src0_sel:BYTE_0 src1_sel:DWORD
	s_mov_b64 s[2:3], 0
	s_mov_b64 s[8:9], 0
                                        ; implicit-def: $vgpr4_vgpr5
	s_and_saveexec_b64 s[10:11], s[6:7]
	s_xor_b64 s[6:7], exec, s[10:11]
	s_cbranch_execz .LBB8_94
; %bb.2:
	v_mov_b32_e32 v2, 28
	v_cmp_gt_i16_sdwa s[4:5], v3, v2 src0_sel:BYTE_0 src1_sel:DWORD
	s_mov_b64 s[10:11], 0
                                        ; implicit-def: $vgpr4_vgpr5
	s_and_saveexec_b64 s[12:13], s[4:5]
	s_xor_b64 s[4:5], exec, s[12:13]
	s_cbranch_execz .LBB8_18
; %bb.3:
	v_mov_b32_e32 v2, 43
	v_cmp_gt_i16_sdwa s[8:9], v3, v2 src0_sel:BYTE_0 src1_sel:DWORD
	s_mov_b64 s[12:13], 0
	s_mov_b64 s[14:15], 0
                                        ; implicit-def: $vgpr4_vgpr5
	s_and_saveexec_b64 s[10:11], s[8:9]
	s_xor_b64 s[8:9], exec, s[10:11]
	s_cbranch_execz .LBB8_13
; %bb.4:
	v_mov_b32_e32 v2, 45
	v_cmp_gt_i16_sdwa s[14:15], v3, v2 src0_sel:BYTE_0 src1_sel:DWORD
	s_mov_b64 s[10:11], 0
                                        ; implicit-def: $vgpr4_vgpr5
	s_and_saveexec_b64 s[16:17], s[14:15]
	s_xor_b64 s[14:15], exec, s[16:17]
	s_cbranch_execz .LBB8_8
; %bb.5:
	v_mov_b32_e32 v2, 46
	v_cmp_eq_u16_sdwa s[18:19], v3, v2 src0_sel:BYTE_0 src1_sel:DWORD
	s_mov_b64 s[16:17], -1
                                        ; implicit-def: $vgpr4_vgpr5
	s_and_saveexec_b64 s[12:13], s[18:19]
	s_cbranch_execz .LBB8_7
; %bb.6:
	flat_load_dword v2, v[0:1]
	s_mov_b64 s[10:11], exec
	s_xor_b64 s[16:17], exec, -1
	s_waitcnt vmcnt(0) lgkmcnt(0)
	v_lshlrev_b32_e32 v2, 16, v2
	v_cvt_f64_f32_e32 v[4:5], v2
.LBB8_7:
	s_or_b64 exec, exec, s[12:13]
	s_and_b64 s[12:13], s[10:11], exec
	s_and_b64 s[10:11], s[16:17], exec
                                        ; implicit-def: $vgpr3
.LBB8_8:
	s_andn2_saveexec_b64 s[14:15], s[14:15]
	s_cbranch_execz .LBB8_12
; %bb.9:
	v_mov_b32_e32 v2, 44
	v_cmp_eq_u16_sdwa s[22:23], v3, v2 src0_sel:BYTE_0 src1_sel:DWORD
	s_mov_b64 s[20:21], -1
	s_mov_b64 s[18:19], s[12:13]
                                        ; implicit-def: $vgpr4_vgpr5
	s_and_saveexec_b64 s[16:17], s[22:23]
	s_cbranch_execz .LBB8_11
; %bb.10:
	flat_load_ubyte v4, v[0:1]
	s_movk_i32 s20, 0xff
	v_bfrev_b32_e32 v5, 4
	v_mov_b32_e32 v6, 0x7ff80000
	v_bfrev_b32_e32 v7, 28
	s_or_b64 s[18:19], s[12:13], exec
	s_waitcnt vmcnt(0) lgkmcnt(0)
	v_lshlrev_b32_e32 v2, 23, v4
	v_cvt_f64_f32_e32 v[2:3], v2
	v_cmp_ne_u32_e32 vcc, s20, v4
	s_xor_b64 s[20:21], exec, -1
	s_nop 0
	v_cndmask_b32_e32 v2, v5, v2, vcc
	v_cndmask_b32_e32 v3, v6, v3, vcc
	v_cmp_ne_u32_e32 vcc, 0, v4
	s_nop 1
	v_cndmask_b32_e32 v5, v7, v3, vcc
	v_cndmask_b32_e32 v4, 0, v2, vcc
.LBB8_11:
	s_or_b64 exec, exec, s[16:17]
	s_andn2_b64 s[12:13], s[12:13], exec
	s_and_b64 s[16:17], s[18:19], exec
	s_or_b64 s[12:13], s[12:13], s[16:17]
	s_andn2_b64 s[10:11], s[10:11], exec
	s_and_b64 s[16:17], s[20:21], exec
	s_or_b64 s[10:11], s[10:11], s[16:17]
.LBB8_12:
	s_or_b64 exec, exec, s[14:15]
	s_and_b64 s[14:15], s[12:13], exec
	s_and_b64 s[12:13], s[10:11], exec
                                        ; implicit-def: $vgpr3
.LBB8_13:
	s_andn2_saveexec_b64 s[8:9], s[8:9]
	s_cbranch_execz .LBB8_17
; %bb.14:
	v_mov_b32_e32 v2, 29
	v_cmp_eq_u16_sdwa s[20:21], v3, v2 src0_sel:BYTE_0 src1_sel:DWORD
	s_mov_b64 s[10:11], -1
	s_mov_b64 s[16:17], s[14:15]
                                        ; implicit-def: $vgpr4_vgpr5
	s_and_saveexec_b64 s[18:19], s[20:21]
	s_cbranch_execz .LBB8_16
; %bb.15:
	flat_load_dwordx2 v[2:3], v[0:1]
	s_or_b64 s[16:17], s[14:15], exec
	s_xor_b64 s[10:11], exec, -1
	s_waitcnt vmcnt(0) lgkmcnt(0)
	v_cvt_f64_u32_e32 v[4:5], v3
	v_cvt_f64_u32_e32 v[2:3], v2
	v_ldexp_f64 v[4:5], v[4:5], 32
	v_add_f64 v[4:5], v[4:5], v[2:3]
.LBB8_16:
	s_or_b64 exec, exec, s[18:19]
	s_andn2_b64 s[14:15], s[14:15], exec
	s_and_b64 s[16:17], s[16:17], exec
	s_andn2_b64 s[12:13], s[12:13], exec
	s_and_b64 s[10:11], s[10:11], exec
	s_or_b64 s[14:15], s[14:15], s[16:17]
	s_or_b64 s[12:13], s[12:13], s[10:11]
.LBB8_17:
	s_or_b64 exec, exec, s[8:9]
	s_and_b64 s[10:11], s[14:15], exec
	s_and_b64 s[8:9], s[12:13], exec
                                        ; implicit-def: $vgpr3
.LBB8_18:
	s_andn2_saveexec_b64 s[4:5], s[4:5]
	s_cbranch_execz .LBB8_36
; %bb.19:
	v_mov_b32_e32 v2, 26
	v_cmp_gt_i16_sdwa s[12:13], v3, v2 src0_sel:BYTE_0 src1_sel:DWORD
                                        ; implicit-def: $vgpr4_vgpr5
	s_and_saveexec_b64 s[14:15], s[12:13]
	s_xor_b64 s[12:13], exec, s[14:15]
	s_cbranch_execz .LBB8_25
; %bb.20:
	v_mov_b32_e32 v2, 27
	v_cmp_gt_i16_sdwa s[14:15], v3, v2 src0_sel:BYTE_0 src1_sel:DWORD
                                        ; implicit-def: $vgpr4_vgpr5
	s_and_saveexec_b64 s[16:17], s[14:15]
	s_xor_b64 s[14:15], exec, s[16:17]
	s_cbranch_execz .LBB8_22
; %bb.21:
	flat_load_dword v2, v[0:1]
	s_waitcnt vmcnt(0) lgkmcnt(0)
	v_cvt_f64_u32_e32 v[4:5], v2
.LBB8_22:
	s_andn2_saveexec_b64 s[14:15], s[14:15]
	s_cbranch_execz .LBB8_24
; %bb.23:
	flat_load_ushort v2, v[0:1]
	s_waitcnt vmcnt(0) lgkmcnt(0)
	v_cvt_f64_u32_e32 v[4:5], v2
.LBB8_24:
	s_or_b64 exec, exec, s[14:15]
.LBB8_25:
	s_andn2_saveexec_b64 s[12:13], s[12:13]
	s_cbranch_execz .LBB8_35
; %bb.26:
	flat_load_ubyte v2, v[0:1]
	s_movk_i32 s14, 0x7f
	s_waitcnt vmcnt(0) lgkmcnt(0)
	v_cmp_lt_i16_e32 vcc, s14, v2
	s_mov_b64 s[14:15], 0
	s_and_saveexec_b64 s[16:17], vcc
	s_xor_b64 s[16:17], exec, s[16:17]
	s_cbranch_execz .LBB8_30
; %bb.27:
	s_movk_i32 s14, 0x80
	v_cmp_eq_u16_e32 vcc, s14, v2
	s_mov_b64 s[14:15], -1
	s_and_saveexec_b64 s[18:19], vcc
; %bb.28:
	s_xor_b64 s[14:15], exec, -1
; %bb.29:
	s_or_b64 exec, exec, s[18:19]
	s_and_b64 s[14:15], s[14:15], exec
.LBB8_30:
	s_or_saveexec_b64 s[16:17], s[16:17]
	v_bfrev_b32_e32 v4, 4
	v_mov_b32_e32 v5, 0x7ff80000
	s_xor_b64 exec, exec, s[16:17]
; %bb.31:
	v_cmp_ne_u16_e32 vcc, 0, v2
	s_andn2_b64 s[14:15], s[14:15], exec
	s_and_b64 s[18:19], vcc, exec
	v_mov_b64_e32 v[4:5], 0
	s_or_b64 s[14:15], s[14:15], s[18:19]
; %bb.32:
	s_or_b64 exec, exec, s[16:17]
	s_and_saveexec_b64 s[16:17], s[14:15]
	s_cbranch_execz .LBB8_34
; %bb.33:
	v_lshlrev_b32_e32 v3, 24, v2
	v_and_b32_e32 v2, 0xffff, v2
	v_and_b32_e32 v4, 7, v2
	v_ffbh_u32_e32 v6, v4
	v_min_u32_e32 v6, 32, v6
	v_subrev_u32_e32 v7, 28, v6
	v_bfe_u32 v5, v2, 3, 4
	v_lshlrev_b32_e32 v2, v7, v2
	v_sub_u32_e32 v6, 29, v6
	v_and_b32_e32 v2, 7, v2
	v_cmp_eq_u32_e32 vcc, 0, v5
	v_and_b32_e32 v3, 0x80000000, v3
	s_nop 0
	v_cndmask_b32_e32 v5, v5, v6, vcc
	v_cndmask_b32_e32 v2, v4, v2, vcc
	v_mov_b32_e32 v4, 0x3b800000
	v_lshlrev_b32_e32 v2, 20, v2
	v_lshl_add_u32 v4, v5, 23, v4
	v_or3_b32 v2, v3, v4, v2
	v_cvt_f64_f32_e32 v[4:5], v2
.LBB8_34:
	s_or_b64 exec, exec, s[16:17]
.LBB8_35:
	s_or_b64 exec, exec, s[12:13]
	s_or_b64 s[10:11], s[10:11], exec
.LBB8_36:
	s_or_b64 exec, exec, s[4:5]
	s_and_b64 s[4:5], s[10:11], exec
	s_and_b64 s[8:9], s[8:9], exec
                                        ; implicit-def: $vgpr3
	s_andn2_saveexec_b64 s[6:7], s[6:7]
	s_cbranch_execnz .LBB8_95
.LBB8_37:
	s_or_b64 exec, exec, s[6:7]
	s_and_saveexec_b64 s[6:7], s[8:9]
	s_cbranch_execnz .LBB8_122
.LBB8_38:
	s_or_b64 exec, exec, s[6:7]
	s_and_saveexec_b64 s[6:7], s[2:3]
	s_xor_b64 s[2:3], exec, s[6:7]
	s_cbranch_execz .LBB8_40
.LBB8_39:
	flat_load_ubyte v0, v[0:1]
	v_mov_b32_e32 v1, 0x3ff00000
	v_mov_b32_e32 v4, 0
	s_or_b64 s[4:5], s[4:5], exec
	s_waitcnt vmcnt(0) lgkmcnt(0)
	v_cmp_ne_u16_e32 vcc, 0, v0
	s_nop 1
	v_cndmask_b32_e32 v5, 0, v1, vcc
.LBB8_40:
	s_or_b64 exec, exec, s[2:3]
	s_and_b64 s[4:5], s[4:5], exec
                                        ; implicit-def: $vgpr3
                                        ; implicit-def: $vgpr0_vgpr1
	s_andn2_saveexec_b64 s[0:1], s[0:1]
	s_cbranch_execnz .LBB8_52
.LBB8_41:
	s_or_b64 exec, exec, s[0:1]
                                        ; implicit-def: $vgpr0_vgpr1
	s_and_saveexec_b64 s[2:3], s[4:5]
	s_cbranch_execz .LBB8_93
.LBB8_42:
	s_mov_b32 s0, 0
	s_mov_b32 s1, 0x40140000
	s_waitcnt vmcnt(0) lgkmcnt(0)
	v_cmp_ge_f64_e32 vcc, s[0:1], v[4:5]
                                        ; implicit-def: $vgpr0_vgpr1
	s_and_saveexec_b64 s[0:1], vcc
	s_xor_b64 s[0:1], exec, s[0:1]
	s_cbranch_execz .LBB8_48
; %bb.43:
	v_mov_b32_e32 v0, 0
	v_cmp_neq_f64_e32 vcc, 0, v[4:5]
	v_mov_b32_e32 v1, 0xfff00000
	s_and_saveexec_b64 s[4:5], vcc
	s_cbranch_execz .LBB8_47
; %bb.44:
	v_mov_b32_e32 v0, 0
	v_cmp_nge_f64_e32 vcc, 0, v[4:5]
	v_mov_b32_e32 v1, 0x7ff80000
	s_and_saveexec_b64 s[6:7], vcc
	s_cbranch_execz .LBB8_46
; %bb.45:
	v_mul_f64 v[0:1], v[4:5], v[4:5]
	v_mov_b32_e32 v2, 0x62f9b6c5
	v_mov_b32_e32 v3, 0x41d2d2be
	v_fmac_f64_e32 v[2:3], 0, v[0:1]
	v_mov_b32_e32 v6, 0x58836521
	v_mov_b32_e32 v7, 0xc262d72d
	v_fmac_f64_e32 v[6:7], v[0:1], v[2:3]
	;; [unrolled: 3-line block ×14, first 2 shown]
	v_div_scale_f64 v[2:3], s[8:9], v[8:9], v[8:9], v[6:7]
	v_rcp_f64_e32 v[10:11], v[2:3]
	v_mov_b32_e32 v16, 0xd438c6b
	v_mov_b32_e32 v17, 0x425a52ba
	;; [unrolled: 1-line block ×3, first 2 shown]
	v_fma_f64 v[12:13], -v[2:3], v[10:11], 1.0
	v_fmac_f64_e32 v[10:11], v[10:11], v[12:13]
	v_fma_f64 v[12:13], -v[2:3], v[10:11], 1.0
	v_fmac_f64_e32 v[10:11], v[10:11], v[12:13]
	v_div_scale_f64 v[12:13], vcc, v[6:7], v[8:9], v[6:7]
	v_mul_f64 v[14:15], v[12:13], v[10:11]
	v_fma_f64 v[2:3], -v[2:3], v[14:15], v[12:13]
	v_mov_b32_e32 v12, 0x4cda4fc5
	v_mov_b32_e32 v13, 0xc1cad23c
	v_fmac_f64_e32 v[12:13], 0, v[0:1]
	v_fmac_f64_e32 v[16:17], v[0:1], v[12:13]
	v_mov_b32_e32 v12, 0xe6ccf175
	v_mov_b32_e32 v13, 0xc2d08a92
	v_fmac_f64_e32 v[12:13], v[0:1], v[16:17]
	v_mov_b32_e32 v16, 0x1b7086e7
	v_mov_b32_e32 v17, 0x408366b1
	v_fmac_f64_e32 v[16:17], 0, v[0:1]
	v_mov_b32_e32 v19, 0x410f5eda
	v_fmac_f64_e32 v[18:19], v[0:1], v[16:17]
	v_mov_b32_e32 v16, 0xdc92a1b1
	v_mov_b32_e32 v17, 0x4193e954
	v_fmac_f64_e32 v[16:17], v[0:1], v[18:19]
	v_mov_b32_e32 v18, 0x7befeac1
	;; [unrolled: 3-line block ×7, first 2 shown]
	v_mov_b32_e32 v17, 0x432a2b42
	v_fmac_f64_e32 v[16:17], v[0:1], v[12:13]
	v_div_scale_f64 v[0:1], s[8:9], v[18:19], v[18:19], v[16:17]
	v_rcp_f64_e32 v[12:13], v[0:1]
	v_div_fmas_f64 v[2:3], v[2:3], v[10:11], v[14:15]
	v_div_fixup_f64 v[2:3], v[2:3], v[8:9], v[6:7]
	s_mov_b32 s8, 0x55555555
	v_fma_f64 v[6:7], -v[0:1], v[12:13], 1.0
	v_fmac_f64_e32 v[12:13], v[12:13], v[6:7]
	v_fma_f64 v[6:7], -v[0:1], v[12:13], 1.0
	v_fmac_f64_e32 v[12:13], v[12:13], v[6:7]
	v_div_scale_f64 v[6:7], vcc, v[16:17], v[18:19], v[16:17]
	v_mul_f64 v[8:9], v[6:7], v[12:13]
	v_fma_f64 v[0:1], -v[0:1], v[8:9], v[6:7]
	v_mov_b32_e32 v6, 0x4189822c
	s_nop 0
	v_div_fmas_f64 v[0:1], v[0:1], v[12:13], v[8:9]
	v_div_fixup_f64 v[0:1], v[0:1], v[18:19], v[16:17]
	v_mov_b32_e32 v7, 0xc02d5d2b
	v_mul_f64 v[0:1], v[4:5], v[0:1]
	v_fmac_f64_e32 v[6:7], v[4:5], v[4:5]
	v_mul_f64 v[0:1], v[6:7], v[0:1]
	v_mov_b32_e32 v6, 0x6072a432
	v_mov_b32_e32 v7, 0xc0489bf6
	v_fmac_f64_e32 v[6:7], v[4:5], v[4:5]
	v_mul_f64 v[0:1], v[6:7], v[0:1]
	v_frexp_mant_f64_e32 v[6:7], v[4:5]
	s_mov_b32 s9, 0x3fe55555
	v_cmp_gt_f64_e32 vcc, s[8:9], v[6:7]
	v_frexp_exp_i32_f64_e32 v8, v[4:5]
	s_mov_b32 s8, 0xbf559e2b
	v_cndmask_b32_e64 v9, 0, 1, vcc
	v_ldexp_f64 v[6:7], v[6:7], v9
	v_subbrev_co_u32_e32 v20, vcc, 0, v8, vcc
	v_add_f64 v[8:9], v[6:7], 1.0
	v_rcp_f64_e32 v[10:11], v[8:9]
	v_add_f64 v[14:15], v[8:9], -1.0
	v_add_f64 v[12:13], v[6:7], -1.0
	v_add_f64 v[6:7], v[6:7], -v[14:15]
	v_fma_f64 v[14:15], -v[8:9], v[10:11], 1.0
	v_fmac_f64_e32 v[10:11], v[14:15], v[10:11]
	v_fma_f64 v[14:15], -v[8:9], v[10:11], 1.0
	v_fmac_f64_e32 v[10:11], v[14:15], v[10:11]
	v_mul_f64 v[14:15], v[12:13], v[10:11]
	v_mul_f64 v[16:17], v[8:9], v[14:15]
	v_fma_f64 v[8:9], v[14:15], v[8:9], -v[16:17]
	v_fmac_f64_e32 v[8:9], v[14:15], v[6:7]
	v_add_f64 v[6:7], v[16:17], v[8:9]
	v_add_f64 v[18:19], v[12:13], -v[6:7]
	v_add_f64 v[16:17], v[6:7], -v[16:17]
	;; [unrolled: 1-line block ×5, first 2 shown]
	v_add_f64 v[6:7], v[8:9], v[6:7]
	v_add_f64 v[6:7], v[18:19], v[6:7]
	v_mul_f64 v[6:7], v[10:11], v[6:7]
	v_add_f64 v[8:9], v[14:15], v[6:7]
	v_add_f64 v[10:11], v[8:9], -v[14:15]
	v_add_f64 v[6:7], v[6:7], -v[10:11]
	v_mul_f64 v[10:11], v[8:9], v[8:9]
	v_mov_b32_e32 v12, 0x6b47b09a
	v_mov_b32_e32 v13, 0x3fc38538
	s_mov_b32 s9, 0x3fc3ab76
	v_fmac_f64_e32 v[12:13], s[8:9], v[10:11]
	v_mov_b32_e32 v14, 0xd7f4df2e
	v_mov_b32_e32 v15, 0x3fc7474d
	v_fmac_f64_e32 v[14:15], v[10:11], v[12:13]
	v_mov_b32_e32 v12, 0x16291751
	v_mov_b32_e32 v13, 0x3fcc71c0
	;; [unrolled: 3-line block ×5, first 2 shown]
	v_fmac_f64_e32 v[14:15], v[10:11], v[12:13]
	v_ldexp_f64 v[12:13], v[8:9], 1
	v_mul_f64 v[8:9], v[8:9], v[10:11]
	v_mul_f64 v[8:9], v[8:9], v[14:15]
	v_add_f64 v[10:11], v[12:13], v[8:9]
	v_add_f64 v[12:13], v[10:11], -v[12:13]
	v_ldexp_f64 v[6:7], v[6:7], 1
	v_add_f64 v[8:9], v[8:9], -v[12:13]
	v_add_f64 v[6:7], v[6:7], v[8:9]
	v_add_f64 v[8:9], v[10:11], v[6:7]
	v_add_f64 v[10:11], v[8:9], -v[10:11]
	s_mov_b32 s8, 0xfefa39ef
	v_add_f64 v[6:7], v[6:7], -v[10:11]
	v_cvt_f64_i32_e32 v[10:11], v20
	s_mov_b32 s9, 0x3fe62e42
	v_mul_f64 v[12:13], v[10:11], s[8:9]
	v_fma_f64 v[14:15], v[10:11], s[8:9], -v[12:13]
	s_mov_b32 s8, 0x3b39803f
	s_mov_b32 s9, 0x3c7abc9e
	v_fmac_f64_e32 v[14:15], s[8:9], v[10:11]
	v_add_f64 v[10:11], v[12:13], v[14:15]
	v_add_f64 v[12:13], v[10:11], -v[12:13]
	v_add_f64 v[12:13], v[14:15], -v[12:13]
	v_add_f64 v[14:15], v[10:11], v[8:9]
	v_add_f64 v[16:17], v[14:15], -v[10:11]
	v_add_f64 v[18:19], v[14:15], -v[16:17]
	;; [unrolled: 1-line block ×4, first 2 shown]
	v_add_f64 v[8:9], v[8:9], v[10:11]
	v_add_f64 v[10:11], v[12:13], v[6:7]
	v_add_f64 v[16:17], v[10:11], -v[12:13]
	v_add_f64 v[18:19], v[10:11], -v[16:17]
	v_add_f64 v[8:9], v[10:11], v[8:9]
	v_add_f64 v[12:13], v[12:13], -v[18:19]
	v_add_f64 v[6:7], v[6:7], -v[16:17]
	v_add_f64 v[10:11], v[14:15], v[8:9]
	v_add_f64 v[6:7], v[6:7], v[12:13]
	v_add_f64 v[12:13], v[10:11], -v[14:15]
	v_div_scale_f64 v[14:15], s[8:9], v[4:5], v[4:5], -1.0
	v_rcp_f64_e32 v[16:17], v[14:15]
	v_add_f64 v[8:9], v[8:9], -v[12:13]
	v_add_f64 v[6:7], v[6:7], v[8:9]
	v_add_f64 v[6:7], v[10:11], v[6:7]
	v_fma_f64 v[8:9], -v[14:15], v[16:17], 1.0
	v_fmac_f64_e32 v[16:17], v[16:17], v[8:9]
	v_fma_f64 v[8:9], -v[14:15], v[16:17], 1.0
	v_fmac_f64_e32 v[16:17], v[16:17], v[8:9]
	v_div_scale_f64 v[8:9], vcc, -1.0, v[4:5], -1.0
	v_mul_f64 v[10:11], v[8:9], v[16:17]
	v_fma_f64 v[8:9], -v[14:15], v[10:11], v[8:9]
	s_mov_b32 s8, 0x6dc9c883
	s_nop 0
	v_div_fmas_f64 v[8:9], v[8:9], v[16:17], v[10:11]
	v_div_fixup_f64 v[8:9], v[8:9], v[4:5], -1.0
	v_fmac_f64_e32 v[8:9], v[0:1], v[6:7]
	s_mov_b32 s9, 0x3fe45f30
	v_mul_f64 v[0:1], v[8:9], s[8:9]
	v_fmac_f64_e32 v[0:1], v[4:5], v[2:3]
.LBB8_46:
	s_or_b64 exec, exec, s[6:7]
.LBB8_47:
	s_or_b64 exec, exec, s[4:5]
                                        ; implicit-def: $vgpr4_vgpr5
.LBB8_48:
	s_andn2_saveexec_b64 s[4:5], s[0:1]
	s_cbranch_execz .LBB8_130
; %bb.49:
	s_mov_b32 s0, 0x7f3321d2
	s_mov_b32 s1, 0xc002d97c
	v_add_f64 v[0:1], v[4:5], s[0:1]
	s_mov_b32 s0, 0
	s_mov_b32 s1, 0x41d00000
	v_cmp_nlt_f64_e64 s[6:7], |v[0:1]|, s[0:1]
	v_trig_preop_f64 v[16:17], |v[0:1]|, 0
	v_trig_preop_f64 v[14:15], |v[0:1]|, 1
	;; [unrolled: 1-line block ×3, first 2 shown]
                                        ; implicit-def: $vgpr20
                                        ; implicit-def: $vgpr2_vgpr3
                                        ; implicit-def: $vgpr6_vgpr7
	s_and_saveexec_b64 s[0:1], s[6:7]
	s_xor_b64 s[8:9], exec, s[0:1]
	s_cbranch_execz .LBB8_123
; %bb.50:
	s_mov_b32 s0, 0
	s_mov_b32 s1, 0x7b000000
	s_movk_i32 s10, 0xff80
	v_and_b32_e32 v6, 0x7fffffff, v1
	v_ldexp_f64 v[2:3], |v[0:1]|, s10
	v_cmp_ge_f64_e64 vcc, |v[0:1]|, s[0:1]
	s_mov_b32 s0, 0
	s_mov_b32 s1, 0x7ff00000
	v_cndmask_b32_e32 v3, v6, v3, vcc
	v_cndmask_b32_e32 v2, v0, v2, vcc
	v_mul_f64 v[8:9], v[16:17], v[2:3]
	v_mul_f64 v[6:7], v[14:15], v[2:3]
	v_fma_f64 v[10:11], v[16:17], v[2:3], -v[8:9]
	v_add_f64 v[18:19], v[6:7], v[10:11]
	v_add_f64 v[26:27], v[18:19], -v[6:7]
	v_add_f64 v[10:11], v[10:11], -v[26:27]
	;; [unrolled: 1-line block ×4, first 2 shown]
	v_add_f64 v[10:11], v[10:11], v[26:27]
	v_fma_f64 v[6:7], v[14:15], v[2:3], -v[6:7]
	v_mul_f64 v[26:27], v[12:13], v[2:3]
	v_add_f64 v[28:29], v[26:27], v[6:7]
	v_add_f64 v[20:21], v[8:9], v[18:19]
	;; [unrolled: 1-line block ×3, first 2 shown]
	v_ldexp_f64 v[22:23], v[20:21], -2
	v_add_f64 v[8:9], v[20:21], -v[8:9]
	v_add_f64 v[20:21], v[30:31], -v[28:29]
	;; [unrolled: 1-line block ×5, first 2 shown]
	v_add_f64 v[10:11], v[10:11], v[20:21]
	v_add_f64 v[20:21], v[28:29], -v[26:27]
	v_add_f64 v[6:7], v[6:7], -v[20:21]
	;; [unrolled: 1-line block ×5, first 2 shown]
	v_add_f64 v[6:7], v[6:7], v[20:21]
	v_fract_f64_e32 v[24:25], v[22:23]
	v_add_f64 v[18:19], v[8:9], v[30:31]
	v_add_f64 v[6:7], v[6:7], v[10:11]
	v_fma_f64 v[2:3], v[12:13], v[2:3], -v[26:27]
	v_add_f64 v[8:9], v[18:19], -v[8:9]
	v_add_f64 v[2:3], v[2:3], v[6:7]
	v_ldexp_f64 v[6:7], v[24:25], 2
	v_cmp_neq_f64_e64 vcc, |v[22:23]|, s[0:1]
	v_add_f64 v[8:9], v[30:31], -v[8:9]
	v_add_f64 v[2:3], v[8:9], v[2:3]
	v_cndmask_b32_e32 v7, 0, v7, vcc
	v_cndmask_b32_e32 v6, 0, v6, vcc
	v_add_f64 v[8:9], v[18:19], v[6:7]
	v_mov_b32_e32 v10, 0x40100000
	v_cmp_gt_f64_e32 vcc, 0, v[8:9]
	v_mov_b32_e32 v8, 0
	s_mov_b32 s10, 0x33145c07
	v_cndmask_b32_e32 v9, 0, v10, vcc
	v_add_f64 v[6:7], v[6:7], v[8:9]
	v_add_f64 v[10:11], v[18:19], v[6:7]
	v_cvt_i32_f64_e32 v9, v[10:11]
	v_cvt_f64_i32_e32 v[10:11], v9
	v_add_f64 v[6:7], v[6:7], -v[10:11]
	v_add_f64 v[10:11], v[18:19], v[6:7]
	v_add_f64 v[6:7], v[10:11], -v[6:7]
	v_add_f64 v[6:7], v[18:19], -v[6:7]
	v_add_f64 v[2:3], v[2:3], v[6:7]
	v_cmp_le_f64_e32 vcc, 0.5, v[10:11]
	v_mov_b32_e32 v6, 0x3ff00000
	s_mov_b32 s11, 0x3c91a626
	v_addc_co_u32_e64 v20, s[0:1], 0, v9, vcc
	v_cndmask_b32_e32 v9, 0, v6, vcc
	v_add_f64 v[6:7], v[10:11], -v[8:9]
	v_add_f64 v[8:9], v[6:7], v[2:3]
	s_mov_b32 s0, 0x54442d18
	v_add_f64 v[6:7], v[8:9], -v[6:7]
	s_mov_b32 s1, 0x3ff921fb
	v_add_f64 v[2:3], v[2:3], -v[6:7]
	v_mul_f64 v[6:7], v[8:9], s[0:1]
	v_fma_f64 v[10:11], v[8:9], s[0:1], -v[6:7]
	v_fmac_f64_e32 v[10:11], s[10:11], v[8:9]
	v_fmac_f64_e32 v[10:11], s[0:1], v[2:3]
	v_add_f64 v[2:3], v[6:7], v[10:11]
	v_add_f64 v[6:7], v[2:3], -v[6:7]
	v_add_f64 v[6:7], v[10:11], -v[6:7]
	s_andn2_saveexec_b64 s[0:1], s[8:9]
	s_cbranch_execz .LBB8_125
	s_branch .LBB8_124
.LBB8_51:
	s_andn2_saveexec_b64 s[0:1], s[0:1]
	s_cbranch_execz .LBB8_41
.LBB8_52:
	v_mov_b32_e32 v2, 4
	v_cmp_gt_i16_sdwa s[2:3], v3, v2 src0_sel:BYTE_0 src1_sel:DWORD
                                        ; implicit-def: $vgpr4_vgpr5
	s_and_saveexec_b64 s[6:7], s[2:3]
	s_xor_b64 s[2:3], exec, s[6:7]
	s_cbranch_execz .LBB8_74
; %bb.53:
	v_mov_b32_e32 v2, 7
	v_cmp_gt_i16_sdwa s[6:7], v3, v2 src0_sel:BYTE_0 src1_sel:DWORD
                                        ; implicit-def: $vgpr4_vgpr5
	s_and_saveexec_b64 s[8:9], s[6:7]
	s_xor_b64 s[6:7], exec, s[8:9]
	s_cbranch_execz .LBB8_63
; %bb.54:
	;; [unrolled: 7-line block ×4, first 2 shown]
	flat_load_dwordx2 v[4:5], v[0:1]
                                        ; implicit-def: $vgpr0_vgpr1
.LBB8_57:
	s_andn2_saveexec_b64 s[10:11], s[10:11]
	s_cbranch_execz .LBB8_59
; %bb.58:
	flat_load_dword v0, v[0:1]
	s_waitcnt vmcnt(0) lgkmcnt(0)
	v_cvt_f64_f32_e32 v[4:5], v0
.LBB8_59:
	s_or_b64 exec, exec, s[10:11]
                                        ; implicit-def: $vgpr0_vgpr1
.LBB8_60:
	s_andn2_saveexec_b64 s[8:9], s[8:9]
	s_cbranch_execz .LBB8_62
; %bb.61:
	flat_load_dword v0, v[0:1]
	s_waitcnt vmcnt(0) lgkmcnt(0)
	v_cvt_f32_f16_e32 v0, v0
	v_cvt_f64_f32_e32 v[4:5], v0
.LBB8_62:
	s_or_b64 exec, exec, s[8:9]
                                        ; implicit-def: $vgpr0_vgpr1
                                        ; implicit-def: $vgpr3
.LBB8_63:
	s_andn2_saveexec_b64 s[6:7], s[6:7]
	s_cbranch_execz .LBB8_73
; %bb.64:
	v_mov_b32_e32 v2, 5
	v_cmp_gt_i16_sdwa s[8:9], v3, v2 src0_sel:BYTE_0 src1_sel:DWORD
                                        ; implicit-def: $vgpr4_vgpr5
	s_and_saveexec_b64 s[10:11], s[8:9]
	s_xor_b64 s[8:9], exec, s[10:11]
	s_cbranch_execz .LBB8_70
; %bb.65:
	v_mov_b32_e32 v2, 6
	v_cmp_gt_i16_sdwa s[10:11], v3, v2 src0_sel:BYTE_0 src1_sel:DWORD
                                        ; implicit-def: $vgpr4_vgpr5
	s_and_saveexec_b64 s[12:13], s[10:11]
	s_xor_b64 s[10:11], exec, s[12:13]
	s_cbranch_execz .LBB8_67
; %bb.66:
	s_waitcnt vmcnt(0) lgkmcnt(0)
	flat_load_dwordx2 v[4:5], v[0:1]
                                        ; implicit-def: $vgpr0_vgpr1
.LBB8_67:
	s_andn2_saveexec_b64 s[10:11], s[10:11]
	s_cbranch_execz .LBB8_69
; %bb.68:
	flat_load_dword v0, v[0:1]
	s_waitcnt vmcnt(0) lgkmcnt(0)
	v_cvt_f64_f32_e32 v[4:5], v0
.LBB8_69:
	s_or_b64 exec, exec, s[10:11]
                                        ; implicit-def: $vgpr0_vgpr1
.LBB8_70:
	s_andn2_saveexec_b64 s[8:9], s[8:9]
	s_cbranch_execz .LBB8_72
; %bb.71:
	flat_load_ushort v0, v[0:1]
	s_waitcnt vmcnt(0) lgkmcnt(0)
	v_cvt_f32_f16_e32 v0, v0
	v_cvt_f64_f32_e32 v[4:5], v0
.LBB8_72:
	s_or_b64 exec, exec, s[8:9]
.LBB8_73:
	s_or_b64 exec, exec, s[6:7]
                                        ; implicit-def: $vgpr3
                                        ; implicit-def: $vgpr0_vgpr1
.LBB8_74:
	s_andn2_saveexec_b64 s[2:3], s[2:3]
	s_cbranch_execz .LBB8_92
; %bb.75:
	v_mov_b32_e32 v2, 1
	v_cmp_gt_i16_sdwa s[6:7], v3, v2 src0_sel:BYTE_0 src1_sel:DWORD
                                        ; implicit-def: $vgpr4_vgpr5
	s_and_saveexec_b64 s[8:9], s[6:7]
	s_xor_b64 s[6:7], exec, s[8:9]
	s_cbranch_execz .LBB8_85
; %bb.76:
	v_mov_b32_e32 v2, 2
	v_cmp_gt_i16_sdwa s[8:9], v3, v2 src0_sel:BYTE_0 src1_sel:DWORD
                                        ; implicit-def: $vgpr4_vgpr5
	s_and_saveexec_b64 s[10:11], s[8:9]
	s_xor_b64 s[8:9], exec, s[10:11]
	;; [unrolled: 7-line block ×3, first 2 shown]
	s_cbranch_execz .LBB8_79
; %bb.78:
	flat_load_dwordx2 v[0:1], v[0:1]
	s_waitcnt vmcnt(0) lgkmcnt(0)
	v_cvt_f64_i32_e32 v[2:3], v1
	v_ldexp_f64 v[2:3], v[2:3], 32
	v_cvt_f64_u32_e32 v[0:1], v0
	v_add_f64 v[4:5], v[2:3], v[0:1]
                                        ; implicit-def: $vgpr0_vgpr1
.LBB8_79:
	s_andn2_saveexec_b64 s[10:11], s[10:11]
	s_cbranch_execz .LBB8_81
; %bb.80:
	flat_load_dword v0, v[0:1]
	s_waitcnt vmcnt(0) lgkmcnt(0)
	v_cvt_f64_i32_e32 v[4:5], v0
.LBB8_81:
	s_or_b64 exec, exec, s[10:11]
                                        ; implicit-def: $vgpr0_vgpr1
.LBB8_82:
	s_andn2_saveexec_b64 s[8:9], s[8:9]
	s_cbranch_execz .LBB8_84
; %bb.83:
	flat_load_sshort v0, v[0:1]
	s_waitcnt vmcnt(0) lgkmcnt(0)
	v_cvt_f64_i32_e32 v[4:5], v0
.LBB8_84:
	s_or_b64 exec, exec, s[8:9]
                                        ; implicit-def: $vgpr0_vgpr1
                                        ; implicit-def: $vgpr3
.LBB8_85:
	s_andn2_saveexec_b64 s[6:7], s[6:7]
	s_cbranch_execz .LBB8_91
; %bb.86:
	v_mov_b32_e32 v2, 0
	v_cmp_gt_i16_sdwa s[8:9], v3, v2 src0_sel:BYTE_0 src1_sel:DWORD
                                        ; implicit-def: $vgpr4_vgpr5
	s_and_saveexec_b64 s[10:11], s[8:9]
	s_xor_b64 s[8:9], exec, s[10:11]
	s_cbranch_execz .LBB8_88
; %bb.87:
	flat_load_sbyte v0, v[0:1]
	s_waitcnt vmcnt(0) lgkmcnt(0)
	v_cvt_f64_i32_e32 v[4:5], v0
                                        ; implicit-def: $vgpr0_vgpr1
.LBB8_88:
	s_andn2_saveexec_b64 s[8:9], s[8:9]
	s_cbranch_execz .LBB8_90
; %bb.89:
	flat_load_ubyte v0, v[0:1]
	s_waitcnt vmcnt(0) lgkmcnt(0)
	v_cvt_f64_u32_e32 v[4:5], v0
.LBB8_90:
	s_or_b64 exec, exec, s[8:9]
.LBB8_91:
	s_or_b64 exec, exec, s[6:7]
.LBB8_92:
	s_or_b64 exec, exec, s[2:3]
	s_or_b64 s[4:5], s[4:5], exec
	s_or_b64 exec, exec, s[0:1]
                                        ; implicit-def: $vgpr0_vgpr1
	s_and_saveexec_b64 s[2:3], s[4:5]
	s_cbranch_execnz .LBB8_42
.LBB8_93:
	s_or_b64 exec, exec, s[2:3]
	s_waitcnt vmcnt(0) lgkmcnt(0)
	s_setpc_b64 s[30:31]
.LBB8_94:
	s_andn2_saveexec_b64 s[6:7], s[6:7]
	s_cbranch_execz .LBB8_37
.LBB8_95:
	v_mov_b32_e32 v2, 22
	v_cmp_gt_i16_sdwa s[2:3], v3, v2 src0_sel:BYTE_0 src1_sel:DWORD
	s_mov_b64 s[10:11], s[4:5]
                                        ; implicit-def: $vgpr4_vgpr5
	s_and_saveexec_b64 s[12:13], s[2:3]
	s_xor_b64 s[2:3], exec, s[12:13]
	s_cbranch_execz .LBB8_113
; %bb.96:
	v_mov_b32_e32 v2, 23
	v_cmp_gt_i16_sdwa s[10:11], v3, v2 src0_sel:BYTE_0 src1_sel:DWORD
                                        ; implicit-def: $vgpr4_vgpr5
	s_and_saveexec_b64 s[12:13], s[10:11]
	s_xor_b64 s[10:11], exec, s[12:13]
	s_cbranch_execz .LBB8_110
; %bb.97:
	v_mov_b32_e32 v2, 24
	v_cmp_gt_i16_sdwa s[12:13], v3, v2 src0_sel:BYTE_0 src1_sel:DWORD
                                        ; implicit-def: $vgpr4_vgpr5
	s_and_saveexec_b64 s[14:15], s[12:13]
	s_xor_b64 s[12:13], exec, s[14:15]
	s_cbranch_execz .LBB8_107
; %bb.98:
	flat_load_ubyte v2, v[0:1]
	s_movk_i32 s14, 0x7f
	s_waitcnt vmcnt(0) lgkmcnt(0)
	v_cmp_lt_i16_e32 vcc, s14, v2
	s_mov_b64 s[14:15], 0
	s_and_saveexec_b64 s[16:17], vcc
	s_xor_b64 s[16:17], exec, s[16:17]
	s_cbranch_execz .LBB8_102
; %bb.99:
	s_movk_i32 s14, 0x80
	v_cmp_eq_u16_e32 vcc, s14, v2
	s_mov_b64 s[14:15], -1
	s_and_saveexec_b64 s[18:19], vcc
; %bb.100:
	s_xor_b64 s[14:15], exec, -1
; %bb.101:
	s_or_b64 exec, exec, s[18:19]
	s_and_b64 s[14:15], s[14:15], exec
.LBB8_102:
	s_or_saveexec_b64 s[16:17], s[16:17]
	v_bfrev_b32_e32 v4, 4
	v_mov_b32_e32 v5, 0x7ff80000
	s_xor_b64 exec, exec, s[16:17]
; %bb.103:
	v_cmp_ne_u16_e32 vcc, 0, v2
	s_andn2_b64 s[14:15], s[14:15], exec
	s_and_b64 s[18:19], vcc, exec
	v_mov_b64_e32 v[4:5], 0
	s_or_b64 s[14:15], s[14:15], s[18:19]
; %bb.104:
	s_or_b64 exec, exec, s[16:17]
	s_and_saveexec_b64 s[16:17], s[14:15]
	s_cbranch_execz .LBB8_106
; %bb.105:
	v_lshlrev_b32_e32 v3, 24, v2
	v_and_b32_e32 v2, 0xffff, v2
	v_and_b32_e32 v4, 3, v2
	v_ffbh_u32_e32 v6, v4
	v_min_u32_e32 v6, 32, v6
	v_subrev_u32_e32 v7, 29, v6
	v_bfe_u32 v5, v2, 2, 5
	v_lshlrev_b32_e32 v2, v7, v2
	v_sub_u32_e32 v6, 30, v6
	v_and_b32_e32 v2, 3, v2
	v_cmp_eq_u32_e32 vcc, 0, v5
	v_and_b32_e32 v3, 0x80000000, v3
	s_nop 0
	v_cndmask_b32_e32 v5, v5, v6, vcc
	v_cndmask_b32_e32 v2, v4, v2, vcc
	v_mov_b32_e32 v4, 0x37800000
	v_lshlrev_b32_e32 v2, 21, v2
	v_lshl_add_u32 v4, v5, 23, v4
	v_or3_b32 v2, v3, v4, v2
	v_cvt_f64_f32_e32 v[4:5], v2
.LBB8_106:
	s_or_b64 exec, exec, s[16:17]
.LBB8_107:
	s_andn2_saveexec_b64 s[12:13], s[12:13]
	s_cbranch_execz .LBB8_109
; %bb.108:
	flat_load_ubyte v2, v[0:1]
	s_mov_b32 s14, 0x7f800000
	s_waitcnt vmcnt(0) lgkmcnt(0)
	v_lshlrev_b32_e32 v2, 24, v2
	v_and_b32_e32 v3, 0x7f000000, v2
	v_ffbh_u32_e32 v4, v3
	v_min_u32_e32 v4, 32, v4
	v_sub_u32_e64 v4, v4, 4 clamp
	v_lshlrev_b32_e32 v6, v4, v3
	v_lshlrev_b32_e32 v4, 23, v4
	v_lshrrev_b32_e32 v6, 4, v6
	v_add_u32_e32 v5, 0x1000000, v3
	v_sub_u32_e32 v4, v6, v4
	v_ashrrev_i32_e32 v5, 8, v5
	v_add_u32_e32 v4, 0x3c000000, v4
	v_and_or_b32 v4, v5, s14, v4
	v_cmp_ne_u32_e32 vcc, 0, v3
	s_brev_b32 s14, 1
	s_nop 0
	v_cndmask_b32_e32 v3, 0, v4, vcc
	v_and_or_b32 v2, v2, s14, v3
	v_cvt_f64_f32_e32 v[4:5], v2
.LBB8_109:
	s_or_b64 exec, exec, s[12:13]
.LBB8_110:
	s_andn2_saveexec_b64 s[10:11], s[10:11]
	s_cbranch_execz .LBB8_112
; %bb.111:
	flat_load_ubyte v2, v[0:1]
	s_movk_i32 s12, 0x7f00
	s_brev_b32 s13, 16
	s_waitcnt vmcnt(0) lgkmcnt(0)
	v_lshlrev_b16_e32 v3, 8, v2
	v_lshlrev_b32_e32 v2, 25, v2
	v_lshrrev_b32_e32 v4, 4, v2
	v_and_or_b32 v5, v3, s12, 0.5
	v_or_b32_e32 v4, 0x70000000, v4
	v_add_f32_e32 v5, -0.5, v5
	v_mul_f32_e32 v4, 0x7800000, v4
	v_cmp_gt_u32_e32 vcc, s13, v2
	v_bfe_i32 v3, v3, 0, 16
	s_brev_b32 s12, 1
	v_cndmask_b32_e32 v2, v4, v5, vcc
	v_and_or_b32 v2, v3, s12, v2
	v_cvt_f64_f32_e32 v[4:5], v2
.LBB8_112:
	s_or_b64 exec, exec, s[10:11]
	s_or_b64 s[10:11], s[4:5], exec
                                        ; implicit-def: $vgpr3
.LBB8_113:
	s_or_saveexec_b64 s[2:3], s[2:3]
	s_mov_b64 s[14:15], 0
	s_mov_b64 s[12:13], s[8:9]
	s_xor_b64 exec, exec, s[2:3]
	s_cbranch_execz .LBB8_121
; %bb.114:
	v_mov_b32_e32 v2, 14
	v_cmp_gt_i16_sdwa s[16:17], v3, v2 src0_sel:BYTE_0 src1_sel:DWORD
	s_mov_b64 s[12:13], s[8:9]
	s_mov_b64 s[14:15], s[10:11]
                                        ; implicit-def: $vgpr4_vgpr5
	s_and_saveexec_b64 s[18:19], s[16:17]
	s_xor_b64 s[16:17], exec, s[18:19]
	s_cbranch_execz .LBB8_118
; %bb.115:
	v_mov_b32_e32 v2, 15
	v_cmp_eq_u16_sdwa s[20:21], v3, v2 src0_sel:BYTE_0 src1_sel:DWORD
	s_mov_b64 s[12:13], -1
	s_mov_b64 s[14:15], s[10:11]
                                        ; implicit-def: $vgpr4_vgpr5
	s_and_saveexec_b64 s[18:19], s[20:21]
	s_cbranch_execz .LBB8_117
; %bb.116:
	flat_load_ushort v2, v[0:1]
	s_or_b64 s[14:15], s[10:11], exec
	s_xor_b64 s[12:13], exec, -1
	s_waitcnt vmcnt(0) lgkmcnt(0)
	v_lshlrev_b32_e32 v2, 16, v2
	v_cvt_f64_f32_e32 v[4:5], v2
.LBB8_117:
	s_or_b64 exec, exec, s[18:19]
	s_andn2_b64 s[18:19], s[10:11], exec
	s_and_b64 s[14:15], s[14:15], exec
	s_or_b64 s[14:15], s[18:19], s[14:15]
	s_andn2_b64 s[18:19], s[8:9], exec
	s_and_b64 s[12:13], s[12:13], exec
	s_or_b64 s[12:13], s[18:19], s[12:13]
                                        ; implicit-def: $vgpr3
.LBB8_118:
	s_or_saveexec_b64 s[16:17], s[16:17]
	s_mov_b64 s[18:19], 0
	s_xor_b64 exec, exec, s[16:17]
; %bb.119:
	v_mov_b32_e32 v2, 11
	v_cmp_ne_u16_sdwa s[20:21], v3, v2 src0_sel:BYTE_0 src1_sel:DWORD
	s_andn2_b64 s[12:13], s[12:13], exec
	s_and_b64 s[20:21], s[20:21], exec
	s_mov_b64 s[18:19], exec
	s_or_b64 s[12:13], s[12:13], s[20:21]
; %bb.120:
	s_or_b64 exec, exec, s[16:17]
	s_andn2_b64 s[10:11], s[10:11], exec
	s_and_b64 s[14:15], s[14:15], exec
	s_andn2_b64 s[16:17], s[8:9], exec
	s_and_b64 s[12:13], s[12:13], exec
	s_or_b64 s[10:11], s[10:11], s[14:15]
	s_and_b64 s[14:15], s[18:19], exec
	s_or_b64 s[12:13], s[16:17], s[12:13]
.LBB8_121:
	s_or_b64 exec, exec, s[2:3]
	s_andn2_b64 s[2:3], s[4:5], exec
	s_and_b64 s[4:5], s[10:11], exec
	s_andn2_b64 s[8:9], s[8:9], exec
	s_and_b64 s[10:11], s[12:13], exec
	s_or_b64 s[4:5], s[2:3], s[4:5]
	s_and_b64 s[2:3], s[14:15], exec
	s_or_b64 s[8:9], s[8:9], s[10:11]
	s_or_b64 exec, exec, s[6:7]
	s_and_saveexec_b64 s[6:7], s[8:9]
	s_cbranch_execz .LBB8_38
.LBB8_122:
	s_trap 2
	; divergent unreachable
	s_andn2_b64 s[2:3], s[2:3], exec
	s_or_b64 exec, exec, s[6:7]
	s_and_saveexec_b64 s[6:7], s[2:3]
	s_xor_b64 s[2:3], exec, s[6:7]
	s_cbranch_execnz .LBB8_39
	s_branch .LBB8_40
.LBB8_123:
	s_andn2_saveexec_b64 s[0:1], s[8:9]
	s_cbranch_execz .LBB8_125
.LBB8_124:
	s_mov_b32 s8, 0x6dc9c883
	s_mov_b32 s9, 0x3fe45f30
	v_mul_f64 v[2:3], |v[0:1]|, s[8:9]
	s_mov_b32 s8, 0x54442d18
	v_rndne_f64_e32 v[8:9], v[2:3]
	s_mov_b32 s9, 0xbff921fb
	v_fma_f64 v[2:3], v[8:9], s[8:9], |v[0:1]|
	s_mov_b32 s9, 0xbc91a626
	s_mov_b32 s8, 0x33145c00
	v_mul_f64 v[10:11], v[8:9], s[8:9]
	v_add_f64 v[20:21], v[2:3], v[10:11]
	v_fma_f64 v[6:7], s[8:9], v[8:9], v[2:3]
	s_mov_b32 s9, 0x3c91a626
	v_add_f64 v[2:3], v[2:3], -v[20:21]
	v_fma_f64 v[18:19], s[8:9], v[8:9], v[10:11]
	v_add_f64 v[2:3], v[2:3], v[10:11]
	v_add_f64 v[10:11], v[20:21], -v[6:7]
	v_add_f64 v[2:3], v[10:11], v[2:3]
	s_mov_b32 s8, 0x252049c0
	v_add_f64 v[10:11], v[2:3], -v[18:19]
	s_mov_b32 s9, 0xb97b839a
	v_fmac_f64_e32 v[10:11], s[8:9], v[8:9]
	v_add_f64 v[2:3], v[6:7], v[10:11]
	v_add_f64 v[6:7], v[2:3], -v[6:7]
	v_add_f64 v[6:7], v[10:11], -v[6:7]
	v_cvt_i32_f64_e32 v20, v[8:9]
.LBB8_125:
	s_or_b64 exec, exec, s[0:1]
                                        ; implicit-def: $vgpr21
                                        ; implicit-def: $vgpr8_vgpr9
                                        ; implicit-def: $vgpr10_vgpr11
	s_and_saveexec_b64 s[0:1], s[6:7]
	s_xor_b64 s[6:7], exec, s[0:1]
	s_cbranch_execz .LBB8_127
; %bb.126:
	s_mov_b32 s0, 0
	s_mov_b32 s1, 0x7b000000
	s_movk_i32 s8, 0xff80
	v_and_b32_e32 v10, 0x7fffffff, v1
	v_ldexp_f64 v[8:9], |v[0:1]|, s8
	v_cmp_ge_f64_e64 vcc, |v[0:1]|, s[0:1]
	s_mov_b32 s0, 0
	s_mov_b32 s1, 0x7ff00000
	v_cndmask_b32_e32 v9, v10, v9, vcc
	v_cndmask_b32_e32 v8, v0, v8, vcc
	v_mul_f64 v[18:19], v[16:17], v[8:9]
	v_mul_f64 v[10:11], v[14:15], v[8:9]
	v_fma_f64 v[16:17], v[16:17], v[8:9], -v[18:19]
	v_add_f64 v[22:23], v[10:11], v[16:17]
	v_add_f64 v[30:31], v[22:23], -v[10:11]
	v_add_f64 v[16:17], v[16:17], -v[30:31]
	;; [unrolled: 1-line block ×4, first 2 shown]
	v_fma_f64 v[10:11], v[14:15], v[8:9], -v[10:11]
	v_mul_f64 v[14:15], v[12:13], v[8:9]
	v_add_f64 v[16:17], v[16:17], v[30:31]
	v_add_f64 v[30:31], v[14:15], v[10:11]
	;; [unrolled: 1-line block ×4, first 2 shown]
	v_ldexp_f64 v[26:27], v[24:25], -2
	v_add_f64 v[18:19], v[24:25], -v[18:19]
	v_add_f64 v[24:25], v[32:33], -v[30:31]
	;; [unrolled: 1-line block ×5, first 2 shown]
	v_add_f64 v[16:17], v[16:17], v[24:25]
	v_add_f64 v[24:25], v[30:31], -v[14:15]
	v_add_f64 v[10:11], v[10:11], -v[24:25]
	;; [unrolled: 1-line block ×4, first 2 shown]
	v_add_f64 v[10:11], v[10:11], v[24:25]
	v_fract_f64_e32 v[28:29], v[26:27]
	v_add_f64 v[10:11], v[10:11], v[16:17]
	v_fma_f64 v[8:9], v[12:13], v[8:9], -v[14:15]
	v_add_f64 v[18:19], v[22:23], -v[18:19]
	v_add_f64 v[8:9], v[8:9], v[10:11]
	v_ldexp_f64 v[10:11], v[28:29], 2
	v_cmp_neq_f64_e64 vcc, |v[26:27]|, s[0:1]
	v_add_f64 v[22:23], v[18:19], v[32:33]
	v_mov_b32_e32 v14, 0x40100000
	v_cndmask_b32_e32 v11, 0, v11, vcc
	v_cndmask_b32_e32 v10, 0, v10, vcc
	v_add_f64 v[12:13], v[22:23], v[10:11]
	v_cmp_gt_f64_e32 vcc, 0, v[12:13]
	v_mov_b32_e32 v12, 0
	v_add_f64 v[18:19], v[22:23], -v[18:19]
	v_cndmask_b32_e32 v13, 0, v14, vcc
	v_add_f64 v[10:11], v[10:11], v[12:13]
	v_add_f64 v[14:15], v[22:23], v[10:11]
	v_cvt_i32_f64_e32 v13, v[14:15]
	v_cvt_f64_i32_e32 v[14:15], v13
	v_add_f64 v[10:11], v[10:11], -v[14:15]
	v_add_f64 v[14:15], v[22:23], v[10:11]
	v_add_f64 v[18:19], v[32:33], -v[18:19]
	v_add_f64 v[10:11], v[14:15], -v[10:11]
	v_add_f64 v[8:9], v[18:19], v[8:9]
	v_add_f64 v[10:11], v[22:23], -v[10:11]
	v_add_f64 v[8:9], v[8:9], v[10:11]
	v_cmp_le_f64_e32 vcc, 0.5, v[14:15]
	v_mov_b32_e32 v10, 0x3ff00000
	s_mov_b32 s8, 0x33145c07
	v_addc_co_u32_e64 v21, s[0:1], 0, v13, vcc
	v_cndmask_b32_e32 v13, 0, v10, vcc
	v_add_f64 v[10:11], v[14:15], -v[12:13]
	v_add_f64 v[12:13], v[10:11], v[8:9]
	s_mov_b32 s0, 0x54442d18
	v_add_f64 v[10:11], v[12:13], -v[10:11]
	s_mov_b32 s1, 0x3ff921fb
	v_add_f64 v[8:9], v[8:9], -v[10:11]
	v_mul_f64 v[10:11], v[12:13], s[0:1]
	v_fma_f64 v[14:15], v[12:13], s[0:1], -v[10:11]
	s_mov_b32 s9, 0x3c91a626
	v_fmac_f64_e32 v[14:15], s[8:9], v[12:13]
	v_fmac_f64_e32 v[14:15], s[0:1], v[8:9]
	v_add_f64 v[8:9], v[10:11], v[14:15]
	v_add_f64 v[10:11], v[8:9], -v[10:11]
	v_add_f64 v[10:11], v[14:15], -v[10:11]
	s_andn2_saveexec_b64 s[0:1], s[6:7]
	s_cbranch_execnz .LBB8_128
	s_branch .LBB8_129
.LBB8_127:
	s_andn2_saveexec_b64 s[0:1], s[6:7]
	s_cbranch_execz .LBB8_129
.LBB8_128:
	s_mov_b32 s6, 0x6dc9c883
	s_mov_b32 s7, 0x3fe45f30
	v_mul_f64 v[8:9], |v[0:1]|, s[6:7]
	s_mov_b32 s6, 0x54442d18
	v_rndne_f64_e32 v[12:13], v[8:9]
	s_mov_b32 s7, 0xbff921fb
	v_fma_f64 v[8:9], v[12:13], s[6:7], |v[0:1]|
	s_mov_b32 s7, 0xbc91a626
	s_mov_b32 s6, 0x33145c00
	v_mul_f64 v[14:15], v[12:13], s[6:7]
	v_add_f64 v[18:19], v[8:9], v[14:15]
	v_fma_f64 v[10:11], s[6:7], v[12:13], v[8:9]
	s_mov_b32 s7, 0x3c91a626
	v_add_f64 v[8:9], v[8:9], -v[18:19]
	v_fma_f64 v[16:17], s[6:7], v[12:13], v[14:15]
	v_add_f64 v[8:9], v[8:9], v[14:15]
	v_add_f64 v[14:15], v[18:19], -v[10:11]
	v_add_f64 v[8:9], v[14:15], v[8:9]
	s_mov_b32 s6, 0x252049c0
	v_add_f64 v[14:15], v[8:9], -v[16:17]
	s_mov_b32 s7, 0xb97b839a
	v_fmac_f64_e32 v[14:15], s[6:7], v[12:13]
	v_add_f64 v[8:9], v[10:11], v[14:15]
	v_add_f64 v[10:11], v[8:9], -v[10:11]
	v_add_f64 v[10:11], v[14:15], -v[10:11]
	v_cvt_i32_f64_e32 v21, v[12:13]
.LBB8_129:
	s_or_b64 exec, exec, s[0:1]
	s_mov_b32 s0, 0
	s_mov_b32 s1, 0x40140000
	v_div_scale_f64 v[12:13], s[6:7], v[4:5], v[4:5], s[0:1]
	v_rcp_f64_e32 v[14:15], v[12:13]
	v_mov_b32_e32 v22, 0x5948aa83
	v_mov_b32_e32 v23, 0x3fb19fdd
	;; [unrolled: 1-line block ×3, first 2 shown]
	v_fma_f64 v[16:17], -v[12:13], v[14:15], 1.0
	v_fmac_f64_e32 v[14:15], v[14:15], v[16:17]
	v_fma_f64 v[16:17], -v[12:13], v[14:15], 1.0
	v_fmac_f64_e32 v[14:15], v[14:15], v[16:17]
	v_div_scale_f64 v[16:17], vcc, s[0:1], v[4:5], s[0:1]
	v_mul_f64 v[18:19], v[16:17], v[14:15]
	v_fma_f64 v[12:13], -v[12:13], v[18:19], v[16:17]
	v_mov_b32_e32 v25, 0x4013edb5
	s_nop 0
	v_div_fmas_f64 v[12:13], v[12:13], v[14:15], v[18:19]
	v_div_fixup_f64 v[12:13], v[12:13], v[4:5], s[0:1]
	v_mul_f64 v[16:17], v[12:13], v[12:13]
	v_mov_b32_e32 v14, 0x4c6c651b
	v_mov_b32_e32 v15, 0x3f48f92c
	v_fmac_f64_e32 v[14:15], 0, v[16:17]
	v_mov_b32_e32 v18, 0xa3fec4b6
	v_mov_b32_e32 v19, 0x3fb2b948
	v_fmac_f64_e32 v[18:19], v[16:17], v[14:15]
	;; [unrolled: 3-line block ×7, first 2 shown]
	v_fmac_f64_e32 v[22:23], v[16:17], v[14:15]
	v_mov_b32_e32 v14, 0xb850eed6
	v_mov_b32_e32 v15, 0x3ff1aea9
	v_fmac_f64_e32 v[14:15], v[16:17], v[22:23]
	v_mov_b32_e32 v22, 0xf7d251a1
	v_mov_b32_e32 v23, 0x40144ba2
	;; [unrolled: 3-line block ×5, first 2 shown]
	v_fmac_f64_e32 v[14:15], 0, v[16:17]
	v_fmac_f64_e32 v[24:25], v[16:17], v[14:15]
	v_mov_b32_e32 v14, 0x9acf1c67
	v_mov_b32_e32 v15, 0x4052f4b9
	v_fmac_f64_e32 v[14:15], v[16:17], v[24:25]
	v_mov_b32_e32 v24, 0x47aa180d
	v_mov_b32_e32 v25, 0x4076ec79
	;; [unrolled: 3-line block ×6, first 2 shown]
	v_mov_b32_e32 v24, 0x60895077
	v_mov_b32_e32 v25, 0x40528f30
	v_fmac_f64_e32 v[14:15], v[16:17], v[26:27]
	v_fmac_f64_e32 v[24:25], 0, v[16:17]
	v_mov_b32_e32 v26, 0xa20e5f6f
	v_mov_b32_e32 v27, 0x409081cb
	v_fmac_f64_e32 v[26:27], v[16:17], v[24:25]
	v_mov_b32_e32 v24, 0x1bfdfe81
	v_mov_b32_e32 v25, 0x40b37a69
	v_fmac_f64_e32 v[24:25], v[16:17], v[26:27]
	v_mov_b32_e32 v26, 0xd280d118
	v_mov_b32_e32 v27, 0x40c2ad28
	v_fmac_f64_e32 v[26:27], v[16:17], v[24:25]
	v_mov_b32_e32 v24, 0xa6973d14
	v_mov_b32_e32 v25, 0x40bf3d0a
	v_fmac_f64_e32 v[24:25], v[16:17], v[26:27]
	v_mov_b32_e32 v26, 0xb4bd1781
	v_mov_b32_e32 v27, 0x40a61462
	v_fma_f64 v[22:23], v[16:17], v[22:23], 1.0
	v_fmac_f64_e32 v[26:27], v[16:17], v[24:25]
	v_fma_f64 v[24:25], v[16:17], v[18:19], 1.0
	v_div_scale_f64 v[28:29], s[0:1], v[22:23], v[22:23], v[24:25]
	v_rcp_f64_e32 v[30:31], v[28:29]
	v_mov_b32_e32 v18, 0x6ae75997
	v_mov_b32_e32 v19, 0x4075017f
	v_fmac_f64_e32 v[18:19], v[16:17], v[26:27]
	v_fma_f64 v[16:17], -v[28:29], v[30:31], 1.0
	v_fmac_f64_e32 v[30:31], v[30:31], v[16:17]
	v_fma_f64 v[16:17], -v[28:29], v[30:31], 1.0
	v_fmac_f64_e32 v[30:31], v[30:31], v[16:17]
	v_div_scale_f64 v[16:17], vcc, v[24:25], v[22:23], v[24:25]
	v_mul_f64 v[26:27], v[16:17], v[30:31]
	v_fma_f64 v[16:17], -v[28:29], v[26:27], v[16:17]
	s_mov_b32 s0, 0x9037ab78
	s_nop 0
	v_div_fmas_f64 v[16:17], v[16:17], v[30:31], v[26:27]
	s_mov_b32 s1, 0x3e21eeb6
	s_mov_b32 s6, 0x46cc5e42
	v_div_fixup_f64 v[16:17], v[16:17], v[22:23], v[24:25]
	v_mul_f64 v[22:23], v[2:3], v[2:3]
	s_mov_b32 s7, 0xbda907db
	v_mov_b64_e32 v[30:31], s[0:1]
	s_mov_b32 s8, 0xa17f65f6
	v_mul_f64 v[24:25], v[22:23], 0.5
	v_fma_f64 v[32:33], s[6:7], v[22:23], v[30:31]
	s_mov_b32 s9, 0xbe927e4f
	s_mov_b32 s10, 0x19f4ec90
	v_add_f64 v[26:27], -v[24:25], 1.0
	v_fma_f64 v[32:33], v[22:23], v[32:33], s[8:9]
	s_mov_b32 s11, 0x3efa01a0
	s_mov_b32 s12, 0x16c16967
	v_add_f64 v[28:29], -v[26:27], 1.0
	v_fma_f64 v[32:33], v[22:23], v[32:33], s[10:11]
	s_mov_b32 s13, 0xbf56c16c
	s_mov_b32 s14, 0x55555555
	v_add_f64 v[24:25], v[28:29], -v[24:25]
	v_fma_f64 v[32:33], v[22:23], v[32:33], s[12:13]
	s_mov_b32 s15, 0x3fa55555
	v_mul_f64 v[28:29], v[22:23], v[22:23]
	v_fma_f64 v[32:33], v[22:23], v[32:33], s[14:15]
	v_fma_f64 v[24:25], v[2:3], -v[6:7], v[24:25]
	s_mov_b32 s0, 0xb42fdfa7
	v_fmac_f64_e32 v[24:25], v[28:29], v[32:33]
	s_mov_b32 s1, 0xbe5ae600
	s_mov_b32 s16, 0xf9a43bb8
	v_add_f64 v[24:25], v[26:27], v[24:25]
	s_mov_b32 s17, 0x3de5e0b2
	v_mov_b64_e32 v[26:27], s[0:1]
	s_mov_b32 s18, 0x796cde01
	v_fma_f64 v[28:29], s[16:17], v[22:23], v[26:27]
	s_mov_b32 s19, 0x3ec71de3
	s_mov_b32 s20, 0x19e83e5c
	v_fma_f64 v[28:29], v[22:23], v[28:29], s[18:19]
	s_mov_b32 s21, 0xbf2a01a0
	;; [unrolled: 3-line block ×3, first 2 shown]
	v_fma_f64 v[28:29], v[22:23], v[28:29], s[22:23]
	v_mul_f64 v[32:33], v[2:3], -v[22:23]
	v_mul_f64 v[34:35], v[6:7], 0.5
	v_fmac_f64_e32 v[34:35], v[32:33], v[28:29]
	v_fma_f64 v[6:7], v[22:23], v[34:35], -v[6:7]
	s_mov_b32 s25, 0xbfc55555
	s_mov_b32 s24, s14
	v_fmac_f64_e32 v[6:7], s[24:25], v[32:33]
	v_add_f64 v[2:3], v[2:3], -v[6:7]
	v_and_b32_e32 v6, 1, v20
	v_cmp_eq_u32_e32 vcc, 0, v6
	s_brev_b32 s26, 1
	s_movk_i32 s27, 0x1f8
	v_cndmask_b32_e32 v22, v24, v2, vcc
	v_cndmask_b32_e32 v2, v25, v3, vcc
	v_lshlrev_b32_e32 v3, 30, v20
	v_xor_b32_e32 v3, v3, v1
	v_bitop3_b32 v20, v2, v3, s26 bitop3:0x78
	v_div_scale_f64 v[2:3], s[0:1], v[18:19], v[18:19], v[14:15]
	v_rcp_f64_e32 v[6:7], v[2:3]
	v_cmp_class_f64_e64 s[0:1], v[0:1], s27
	v_mov_b32_e32 v28, 0x7ff80000
	s_nop 0
	v_cndmask_b32_e64 v0, 0, v22, s[0:1]
	v_fma_f64 v[22:23], -v[2:3], v[6:7], 1.0
	v_fmac_f64_e32 v[6:7], v[6:7], v[22:23]
	v_fma_f64 v[22:23], -v[2:3], v[6:7], 1.0
	v_fmac_f64_e32 v[6:7], v[6:7], v[22:23]
	v_div_scale_f64 v[22:23], vcc, v[14:15], v[18:19], v[14:15]
	v_mul_f64 v[24:25], v[22:23], v[6:7]
	v_fma_f64 v[2:3], -v[2:3], v[24:25], v[22:23]
	v_cndmask_b32_e64 v1, v28, v20, s[0:1]
	s_nop 0
	v_div_fmas_f64 v[2:3], v[2:3], v[6:7], v[24:25]
	v_div_fixup_f64 v[2:3], v[2:3], v[18:19], v[14:15]
	v_mul_f64 v[6:7], v[8:9], v[8:9]
	v_mul_f64 v[2:3], v[12:13], v[2:3]
	v_mul_f64 v[12:13], v[6:7], 0.5
	v_fmac_f64_e32 v[30:31], s[6:7], v[6:7]
	v_add_f64 v[14:15], -v[12:13], 1.0
	v_fma_f64 v[22:23], v[6:7], v[30:31], s[8:9]
	v_add_f64 v[18:19], -v[14:15], 1.0
	v_fma_f64 v[22:23], v[6:7], v[22:23], s[10:11]
	v_add_f64 v[12:13], v[18:19], -v[12:13]
	v_fma_f64 v[22:23], v[6:7], v[22:23], s[12:13]
	v_mul_f64 v[18:19], v[6:7], v[6:7]
	v_fma_f64 v[22:23], v[6:7], v[22:23], s[14:15]
	v_fma_f64 v[12:13], v[8:9], -v[10:11], v[12:13]
	v_fmac_f64_e32 v[12:13], v[18:19], v[22:23]
	v_fmac_f64_e32 v[26:27], s[16:17], v[6:7]
	v_add_f64 v[12:13], v[14:15], v[12:13]
	v_fma_f64 v[14:15], v[6:7], v[26:27], s[18:19]
	v_fma_f64 v[14:15], v[6:7], v[14:15], s[20:21]
	;; [unrolled: 1-line block ×3, first 2 shown]
	v_mul_f64 v[18:19], v[8:9], -v[6:7]
	v_mul_f64 v[22:23], v[10:11], 0.5
	v_fmac_f64_e32 v[22:23], v[18:19], v[14:15]
	v_fma_f64 v[6:7], v[6:7], v[22:23], -v[10:11]
	v_fmac_f64_e32 v[6:7], s[24:25], v[18:19]
	v_add_f64 v[6:7], v[8:9], -v[6:7]
	v_and_b32_e32 v8, 1, v21
	v_xor_b32_e32 v7, 0x80000000, v7
	v_cmp_eq_u32_e32 vcc, 0, v8
	v_lshlrev_b32_e32 v8, 30, v21
	s_nop 0
	v_cndmask_b32_e32 v7, v7, v13, vcc
	v_cndmask_b32_e32 v6, v6, v12, vcc
	v_bitop3_b32 v7, v7, v8, s26 bitop3:0x78
	v_cndmask_b32_e64 v6, 0, v6, s[0:1]
	v_cndmask_b32_e64 v7, v28, v7, s[0:1]
	s_mov_b32 s0, 0
	v_mul_f64 v[2:3], v[2:3], v[6:7]
	s_brev_b32 s1, 8
	v_fmac_f64_e32 v[2:3], v[16:17], v[0:1]
	v_mov_b32_e32 v0, 0x100
	v_cmp_gt_f64_e32 vcc, s[0:1], v[4:5]
	s_mov_b32 s0, 0x33d43651
	s_mov_b32 s1, 0x3fe98845
	v_cndmask_b32_e32 v0, 0, v0, vcc
	v_ldexp_f64 v[0:1], v[4:5], v0
	v_rsq_f64_e32 v[4:5], v[0:1]
	v_mul_f64 v[2:3], v[2:3], s[0:1]
	v_mul_f64 v[6:7], v[0:1], v[4:5]
	v_mul_f64 v[4:5], v[4:5], 0.5
	v_fma_f64 v[8:9], -v[4:5], v[6:7], 0.5
	v_fmac_f64_e32 v[6:7], v[6:7], v[8:9]
	v_fma_f64 v[10:11], -v[6:7], v[6:7], v[0:1]
	v_fmac_f64_e32 v[4:5], v[4:5], v[8:9]
	v_fmac_f64_e32 v[6:7], v[10:11], v[4:5]
	v_fma_f64 v[8:9], -v[6:7], v[6:7], v[0:1]
	v_fmac_f64_e32 v[6:7], v[8:9], v[4:5]
	v_mov_b32_e32 v4, 0xffffff80
	v_cndmask_b32_e32 v4, 0, v4, vcc
	v_ldexp_f64 v[4:5], v[6:7], v4
	v_mov_b32_e32 v6, 0x260
	v_cmp_class_f64_e32 vcc, v[0:1], v6
	s_nop 1
	v_cndmask_b32_e32 v1, v5, v1, vcc
	v_cndmask_b32_e32 v0, v4, v0, vcc
	v_div_scale_f64 v[4:5], s[0:1], v[0:1], v[0:1], v[2:3]
	v_rcp_f64_e32 v[6:7], v[4:5]
	s_nop 0
	v_fma_f64 v[8:9], -v[4:5], v[6:7], 1.0
	v_fmac_f64_e32 v[6:7], v[6:7], v[8:9]
	v_fma_f64 v[8:9], -v[4:5], v[6:7], 1.0
	v_fmac_f64_e32 v[6:7], v[6:7], v[8:9]
	v_div_scale_f64 v[8:9], vcc, v[2:3], v[0:1], v[2:3]
	v_mul_f64 v[10:11], v[8:9], v[6:7]
	v_fma_f64 v[4:5], -v[4:5], v[10:11], v[8:9]
	s_nop 1
	v_div_fmas_f64 v[4:5], v[4:5], v[6:7], v[10:11]
	v_div_fixup_f64 v[0:1], v[4:5], v[0:1], v[2:3]
.LBB8_130:
	s_or_b64 exec, exec, s[4:5]
	s_or_b64 exec, exec, s[2:3]
	s_setpc_b64 s[30:31]
.Lfunc_end8:
	.size	_ZN2at6native6invokeIZZZNS0_12_GLOBAL__N_121bessel_y1_kernel_cudaERNS_18TensorIteratorBaseEENKUlvE_clEvENKUlvE_clEvEUldE_i15function_traitsIS7_EEENT1_11result_typeERKT_PrKPcPKT0_PKN3c1010ScalarTypeEi, .Lfunc_end8-_ZN2at6native6invokeIZZZNS0_12_GLOBAL__N_121bessel_y1_kernel_cudaERNS_18TensorIteratorBaseEENKUlvE_clEvENKUlvE_clEvEUldE_i15function_traitsIS7_EEENT1_11result_typeERKT_PrKPcPKT0_PKN3c1010ScalarTypeEi
                                        ; -- End function
	.set .L_ZN2at6native6invokeIZZZNS0_12_GLOBAL__N_121bessel_y1_kernel_cudaERNS_18TensorIteratorBaseEENKUlvE_clEvENKUlvE_clEvEUldE_i15function_traitsIS7_EEENT1_11result_typeERKT_PrKPcPKT0_PKN3c1010ScalarTypeEi.num_vgpr, 36
	.set .L_ZN2at6native6invokeIZZZNS0_12_GLOBAL__N_121bessel_y1_kernel_cudaERNS_18TensorIteratorBaseEENKUlvE_clEvENKUlvE_clEvEUldE_i15function_traitsIS7_EEENT1_11result_typeERKT_PrKPcPKT0_PKN3c1010ScalarTypeEi.num_agpr, 0
	.set .L_ZN2at6native6invokeIZZZNS0_12_GLOBAL__N_121bessel_y1_kernel_cudaERNS_18TensorIteratorBaseEENKUlvE_clEvENKUlvE_clEvEUldE_i15function_traitsIS7_EEENT1_11result_typeERKT_PrKPcPKT0_PKN3c1010ScalarTypeEi.numbered_sgpr, 32
	.set .L_ZN2at6native6invokeIZZZNS0_12_GLOBAL__N_121bessel_y1_kernel_cudaERNS_18TensorIteratorBaseEENKUlvE_clEvENKUlvE_clEvEUldE_i15function_traitsIS7_EEENT1_11result_typeERKT_PrKPcPKT0_PKN3c1010ScalarTypeEi.num_named_barrier, 0
	.set .L_ZN2at6native6invokeIZZZNS0_12_GLOBAL__N_121bessel_y1_kernel_cudaERNS_18TensorIteratorBaseEENKUlvE_clEvENKUlvE_clEvEUldE_i15function_traitsIS7_EEENT1_11result_typeERKT_PrKPcPKT0_PKN3c1010ScalarTypeEi.private_seg_size, 0
	.set .L_ZN2at6native6invokeIZZZNS0_12_GLOBAL__N_121bessel_y1_kernel_cudaERNS_18TensorIteratorBaseEENKUlvE_clEvENKUlvE_clEvEUldE_i15function_traitsIS7_EEENT1_11result_typeERKT_PrKPcPKT0_PKN3c1010ScalarTypeEi.uses_vcc, 1
	.set .L_ZN2at6native6invokeIZZZNS0_12_GLOBAL__N_121bessel_y1_kernel_cudaERNS_18TensorIteratorBaseEENKUlvE_clEvENKUlvE_clEvEUldE_i15function_traitsIS7_EEENT1_11result_typeERKT_PrKPcPKT0_PKN3c1010ScalarTypeEi.uses_flat_scratch, 0
	.set .L_ZN2at6native6invokeIZZZNS0_12_GLOBAL__N_121bessel_y1_kernel_cudaERNS_18TensorIteratorBaseEENKUlvE_clEvENKUlvE_clEvEUldE_i15function_traitsIS7_EEENT1_11result_typeERKT_PrKPcPKT0_PKN3c1010ScalarTypeEi.has_dyn_sized_stack, 0
	.set .L_ZN2at6native6invokeIZZZNS0_12_GLOBAL__N_121bessel_y1_kernel_cudaERNS_18TensorIteratorBaseEENKUlvE_clEvENKUlvE_clEvEUldE_i15function_traitsIS7_EEENT1_11result_typeERKT_PrKPcPKT0_PKN3c1010ScalarTypeEi.has_recursion, 0
	.set .L_ZN2at6native6invokeIZZZNS0_12_GLOBAL__N_121bessel_y1_kernel_cudaERNS_18TensorIteratorBaseEENKUlvE_clEvENKUlvE_clEvEUldE_i15function_traitsIS7_EEENT1_11result_typeERKT_PrKPcPKT0_PKN3c1010ScalarTypeEi.has_indirect_call, 0
	.section	.AMDGPU.csdata,"",@progbits
; Function info:
; codeLenInByte = 7508
; TotalNumSgprs: 38
; NumVgprs: 36
; NumAgprs: 0
; TotalNumVgprs: 36
; ScratchSize: 0
; MemoryBound: 1
	.section	.text._ZN2at6native32elementwise_kernel_manual_unrollILi128ELi4EZNS0_15gpu_kernel_implIZZZNS0_12_GLOBAL__N_121bessel_y1_kernel_cudaERNS_18TensorIteratorBaseEENKUlvE_clEvENKUlvE_clEvEUldE_EEvS5_RKT_EUlibE_EEviT1_,"axG",@progbits,_ZN2at6native32elementwise_kernel_manual_unrollILi128ELi4EZNS0_15gpu_kernel_implIZZZNS0_12_GLOBAL__N_121bessel_y1_kernel_cudaERNS_18TensorIteratorBaseEENKUlvE_clEvENKUlvE_clEvEUldE_EEvS5_RKT_EUlibE_EEviT1_,comdat
	.globl	_ZN2at6native32elementwise_kernel_manual_unrollILi128ELi4EZNS0_15gpu_kernel_implIZZZNS0_12_GLOBAL__N_121bessel_y1_kernel_cudaERNS_18TensorIteratorBaseEENKUlvE_clEvENKUlvE_clEvEUldE_EEvS5_RKT_EUlibE_EEviT1_ ; -- Begin function _ZN2at6native32elementwise_kernel_manual_unrollILi128ELi4EZNS0_15gpu_kernel_implIZZZNS0_12_GLOBAL__N_121bessel_y1_kernel_cudaERNS_18TensorIteratorBaseEENKUlvE_clEvENKUlvE_clEvEUldE_EEvS5_RKT_EUlibE_EEviT1_
	.p2align	8
	.type	_ZN2at6native32elementwise_kernel_manual_unrollILi128ELi4EZNS0_15gpu_kernel_implIZZZNS0_12_GLOBAL__N_121bessel_y1_kernel_cudaERNS_18TensorIteratorBaseEENKUlvE_clEvENKUlvE_clEvEUldE_EEvS5_RKT_EUlibE_EEviT1_,@function
_ZN2at6native32elementwise_kernel_manual_unrollILi128ELi4EZNS0_15gpu_kernel_implIZZZNS0_12_GLOBAL__N_121bessel_y1_kernel_cudaERNS_18TensorIteratorBaseEENKUlvE_clEvENKUlvE_clEvEUldE_EEvS5_RKT_EUlibE_EEviT1_: ; @_ZN2at6native32elementwise_kernel_manual_unrollILi128ELi4EZNS0_15gpu_kernel_implIZZZNS0_12_GLOBAL__N_121bessel_y1_kernel_cudaERNS_18TensorIteratorBaseEENKUlvE_clEvENKUlvE_clEvEUldE_EEvS5_RKT_EUlibE_EEviT1_
; %bb.0:
	v_mov_b32_e32 v1, 0
	global_load_ushort v1, v1, s[0:1] offset:33
	s_load_dword s54, s[0:1], 0x0
	s_load_dwordx2 s[28:29], s[0:1], 0x18
	s_load_dwordx4 s[36:39], s[0:1], 0x8
	v_lshl_or_b32 v42, s2, 9, v0
	v_mov_b32_e32 v2, 8
	v_or_b32_e32 v44, 0x180, v42
	s_mov_b64 s[34:35], 0
	s_waitcnt lgkmcnt(0)
	v_cmp_le_i32_e32 vcc, s54, v44
	s_mov_b64 s[42:43], 0
	s_mov_b32 s32, 0
	s_waitcnt vmcnt(0)
	v_readfirstlane_b32 s33, v1
	v_lshrrev_b32_sdwa v43, v2, v1 dst_sel:DWORD dst_unused:UNUSED_PAD src0_sel:DWORD src1_sel:WORD_0
	s_and_saveexec_b64 s[0:1], vcc
	s_xor_b64 s[40:41], exec, s[0:1]
	s_cbranch_execz .LBB9_508
; %bb.1:
	v_cmp_gt_i32_e32 vcc, s54, v42
	s_mov_b64 s[0:1], -1
	s_mov_b64 s[48:49], 0
	s_and_saveexec_b64 s[44:45], vcc
                                        ; implicit-def: $vgpr2_vgpr3
	s_cbranch_execz .LBB9_124
; %bb.2:
	s_getpc_b64 s[0:1]
	s_add_u32 s0, s0, _ZN2at6native6invokeIZZZNS0_12_GLOBAL__N_121bessel_y1_kernel_cudaERNS_18TensorIteratorBaseEENKUlvE_clEvENKUlvE_clEvEUldE_i15function_traitsIS7_EEENT1_11result_typeERKT_PrKPcPKT0_PKN3c1010ScalarTypeEi@rel32@lo+4
	s_addc_u32 s1, s1, _ZN2at6native6invokeIZZZNS0_12_GLOBAL__N_121bessel_y1_kernel_cudaERNS_18TensorIteratorBaseEENKUlvE_clEvENKUlvE_clEvEUldE_i15function_traitsIS7_EEENT1_11result_typeERKT_PrKPcPKT0_PKN3c1010ScalarTypeEi@rel32@hi+12
	v_mov_b32_e32 v0, s38
	v_mov_b32_e32 v1, s39
	;; [unrolled: 1-line block ×5, first 2 shown]
	s_swappc_b64 s[30:31], s[0:1]
	v_mul_lo_u32 v2, v42, s28
	v_ashrrev_i32_e32 v3, 31, v2
	s_and_b32 s8, s33, 0xff
	s_cmp_lt_i32 s8, 11
	v_lshl_add_u64 v[4:5], s[36:37], 0, v[2:3]
	s_cbranch_scc1 .LBB9_9
; %bb.3:
	s_and_b32 s9, 0xffff, s8
	s_cmp_gt_i32 s9, 25
	s_cbranch_scc0 .LBB9_12
; %bb.4:
	s_cmp_gt_i32 s9, 28
	s_cbranch_scc0 .LBB9_13
; %bb.5:
	;; [unrolled: 3-line block ×4, first 2 shown]
	s_mov_b64 s[4:5], 0
	s_mov_b64 s[0:1], -1
	s_cmp_eq_u32 s9, 46
	s_mov_b64 s[2:3], 0
	s_cbranch_scc0 .LBB9_16
; %bb.8:
	v_cvt_f32_f64_e32 v2, v[0:1]
	v_bfe_u32 v3, v2, 16, 1
	s_movk_i32 s0, 0x7fff
	v_add3_u32 v3, v2, v3, s0
	v_cmp_o_f32_e32 vcc, v2, v2
	v_mov_b32_e32 v2, 0x7fc0
	s_mov_b64 s[2:3], -1
	v_cndmask_b32_sdwa v2, v2, v3, vcc dst_sel:DWORD dst_unused:UNUSED_PAD src0_sel:DWORD src1_sel:WORD_1
	global_store_dword v[4:5], v2, off
	s_mov_b64 s[0:1], 0
	s_branch .LBB9_16
.LBB9_9:
	s_mov_b64 s[0:1], 0
	s_mov_b64 s[2:3], 0
	s_cbranch_execnz .LBB9_84
.LBB9_10:
	s_andn2_b64 vcc, exec, s[2:3]
	s_cbranch_vccnz .LBB9_122
.LBB9_11:
	v_add_u32_e32 v42, 0x80, v42
	s_mov_b64 s[2:3], -1
	s_branch .LBB9_123
.LBB9_12:
	s_mov_b64 s[0:1], 0
	s_mov_b64 s[2:3], 0
	s_cbranch_execnz .LBB9_43
	s_branch .LBB9_83
.LBB9_13:
	s_mov_b64 s[4:5], -1
	s_mov_b64 s[0:1], 0
	s_mov_b64 s[2:3], 0
	s_branch .LBB9_26
.LBB9_14:
	s_mov_b64 s[4:5], -1
	s_mov_b64 s[0:1], 0
	s_mov_b64 s[2:3], 0
	s_branch .LBB9_22
.LBB9_15:
	s_mov_b64 s[4:5], -1
	s_mov_b64 s[0:1], 0
	s_mov_b64 s[2:3], 0
.LBB9_16:
	s_and_b64 vcc, exec, s[4:5]
	s_cbranch_vccz .LBB9_21
; %bb.17:
	s_cmp_eq_u32 s9, 44
	s_mov_b64 s[0:1], -1
	s_cbranch_scc0 .LBB9_21
; %bb.18:
	v_cvt_f32_f64_e32 v2, v[0:1]
	v_bfe_u32 v3, v2, 23, 8
	s_movk_i32 s0, 0xff
	v_cmp_ne_u32_e32 vcc, s0, v3
	v_mov_b32_e32 v6, 0xff
	s_and_saveexec_b64 s[2:3], vcc
; %bb.19:
	s_mov_b32 s0, 0x3fffff
	v_lshrrev_b32_e32 v6, 23, v2
	v_and_b32_e32 v7, 0x400000, v2
	v_and_or_b32 v2, v2, s0, v3
	v_cmp_ne_u32_e32 vcc, 0, v7
	v_cmp_ne_u32_e64 s[0:1], 0, v2
	s_and_b64 s[0:1], vcc, s[0:1]
	s_nop 0
	v_cndmask_b32_e64 v2, 0, 1, s[0:1]
	v_add_u32_e32 v6, v6, v2
; %bb.20:
	s_or_b64 exec, exec, s[2:3]
	s_mov_b64 s[2:3], -1
	s_mov_b64 s[0:1], 0
	global_store_byte v[4:5], v6, off
.LBB9_21:
	s_mov_b64 s[4:5], 0
.LBB9_22:
	s_and_b64 vcc, exec, s[4:5]
	s_cbranch_vccz .LBB9_25
; %bb.23:
	s_cmp_eq_u32 s9, 29
	s_mov_b64 s[0:1], -1
	s_cbranch_scc0 .LBB9_25
; %bb.24:
	v_trunc_f64_e32 v[2:3], v[0:1]
	s_movk_i32 s0, 0xffe0
	v_ldexp_f64 v[6:7], v[2:3], s0
	v_floor_f64_e32 v[6:7], v[6:7]
	v_fmac_f64_e32 v[2:3], 0xc1f00000, v[6:7]
	v_cvt_u32_f64_e32 v9, v[6:7]
	v_cvt_u32_f64_e32 v8, v[2:3]
	global_store_dwordx2 v[4:5], v[8:9], off
	s_mov_b64 s[2:3], -1
	s_mov_b64 s[0:1], 0
.LBB9_25:
	s_mov_b64 s[4:5], 0
.LBB9_26:
	s_and_b64 vcc, exec, s[4:5]
	s_cbranch_vccz .LBB9_42
; %bb.27:
	s_cmp_lt_i32 s9, 27
	s_mov_b64 s[2:3], -1
	s_cbranch_scc1 .LBB9_33
; %bb.28:
	s_cmp_gt_i32 s9, 27
	v_cvt_u32_f64_e32 v2, v[0:1]
	s_cbranch_scc0 .LBB9_30
; %bb.29:
	s_mov_b64 s[2:3], 0
	global_store_dword v[4:5], v2, off
.LBB9_30:
	s_andn2_b64 vcc, exec, s[2:3]
	s_cbranch_vccnz .LBB9_32
; %bb.31:
	global_store_short v[4:5], v2, off
.LBB9_32:
	s_mov_b64 s[2:3], 0
.LBB9_33:
	s_andn2_b64 vcc, exec, s[2:3]
	s_cbranch_vccnz .LBB9_41
; %bb.34:
	v_cvt_f32_f64_e32 v2, v[0:1]
	v_and_b32_e32 v3, 0x7fffffff, v2
	s_mov_b32 s2, 0x43800000
	v_cmp_gt_u32_e32 vcc, s2, v3
	v_mov_b32_e32 v6, 0x80
	s_and_saveexec_b64 s[2:3], vcc
	s_cbranch_execz .LBB9_40
; %bb.35:
	s_mov_b32 s4, 0x3bffffff
	v_cmp_lt_u32_e32 vcc, s4, v3
	s_mov_b64 s[4:5], 0
                                        ; implicit-def: $vgpr3
	s_and_saveexec_b64 s[6:7], vcc
	s_xor_b64 s[6:7], exec, s[6:7]
	s_cbranch_execz .LBB9_141
; %bb.36:
	v_bfe_u32 v3, v2, 20, 1
	s_mov_b32 s10, 0x487ffff
	v_add3_u32 v3, v2, v3, s10
	s_mov_b64 s[4:5], exec
	v_lshrrev_b32_e32 v3, 20, v3
	s_andn2_saveexec_b64 s[6:7], s[6:7]
	s_cbranch_execnz .LBB9_142
.LBB9_37:
	s_or_b64 exec, exec, s[6:7]
	v_mov_b32_e32 v6, 0
	s_and_saveexec_b64 s[6:7], s[4:5]
.LBB9_38:
	v_lshrrev_b32_e32 v2, 24, v2
	s_movk_i32 s4, 0x80
	v_and_or_b32 v6, v2, s4, v3
.LBB9_39:
	s_or_b64 exec, exec, s[6:7]
.LBB9_40:
	s_or_b64 exec, exec, s[2:3]
	global_store_byte v[4:5], v6, off
.LBB9_41:
	s_mov_b64 s[2:3], -1
.LBB9_42:
	s_branch .LBB9_83
.LBB9_43:
	s_cmp_gt_i32 s9, 22
	s_mov_b64 s[4:5], -1
	s_cbranch_scc0 .LBB9_75
; %bb.44:
	s_cmp_lt_i32 s9, 24
	s_mov_b64 s[2:3], -1
	s_cbranch_scc1 .LBB9_64
; %bb.45:
	s_cmp_gt_i32 s9, 24
	s_cbranch_scc0 .LBB9_53
; %bb.46:
	v_cvt_f32_f64_e32 v2, v[0:1]
	v_and_b32_e32 v3, 0x7fffffff, v2
	s_mov_b32 s2, 0x47800000
	v_cmp_gt_u32_e32 vcc, s2, v3
	v_mov_b32_e32 v6, 0x80
	s_and_saveexec_b64 s[2:3], vcc
	s_cbranch_execz .LBB9_52
; %bb.47:
	s_mov_b32 s4, 0x37ffffff
	v_cmp_lt_u32_e32 vcc, s4, v3
	s_mov_b64 s[4:5], 0
                                        ; implicit-def: $vgpr3
	s_and_saveexec_b64 s[6:7], vcc
	s_xor_b64 s[6:7], exec, s[6:7]
	s_cbranch_execz .LBB9_144
; %bb.48:
	v_bfe_u32 v3, v2, 21, 1
	s_mov_b32 s10, 0x88fffff
	v_add3_u32 v3, v2, v3, s10
	s_mov_b64 s[4:5], exec
	v_lshrrev_b32_e32 v3, 21, v3
	s_andn2_saveexec_b64 s[6:7], s[6:7]
	s_cbranch_execnz .LBB9_145
.LBB9_49:
	s_or_b64 exec, exec, s[6:7]
	v_mov_b32_e32 v6, 0
	s_and_saveexec_b64 s[6:7], s[4:5]
.LBB9_50:
	v_lshrrev_b32_e32 v2, 24, v2
	s_movk_i32 s4, 0x80
	v_and_or_b32 v6, v2, s4, v3
.LBB9_51:
	s_or_b64 exec, exec, s[6:7]
.LBB9_52:
	s_or_b64 exec, exec, s[2:3]
	s_mov_b64 s[2:3], 0
	global_store_byte v[4:5], v6, off
.LBB9_53:
	s_and_b64 vcc, exec, s[2:3]
	s_cbranch_vccz .LBB9_63
; %bb.54:
	v_cvt_f32_f64_e32 v2, v[0:1]
	v_and_b32_e32 v6, 0x7fffffff, v2
	s_mov_b32 s2, 0x43f00000
	v_cmp_gt_u32_e32 vcc, s2, v6
                                        ; implicit-def: $vgpr3
	s_and_saveexec_b64 s[2:3], vcc
	s_xor_b64 s[2:3], exec, s[2:3]
	s_cbranch_execz .LBB9_60
; %bb.55:
	s_mov_b32 s4, 0x3c7fffff
	v_cmp_lt_u32_e32 vcc, s4, v6
                                        ; implicit-def: $vgpr3
	s_and_saveexec_b64 s[4:5], vcc
	s_xor_b64 s[4:5], exec, s[4:5]
; %bb.56:
	v_bfe_u32 v3, v2, 20, 1
	s_mov_b32 s6, 0x407ffff
	v_add3_u32 v3, v2, v3, s6
	v_lshrrev_b32_e32 v6, 20, v3
	v_and_b32_e32 v3, 0xff00000, v3
	s_mov_b32 s6, 0x7f00000
	v_mov_b32_e32 v7, 0x7e
	v_cmp_ne_u32_e32 vcc, s6, v3
	s_nop 1
	v_cndmask_b32_e32 v3, v7, v6, vcc
; %bb.57:
	s_andn2_saveexec_b64 s[4:5], s[4:5]
; %bb.58:
	s_mov_b32 s6, 0x46800000
	v_add_f32_e64 v3, |v2|, s6
; %bb.59:
	s_or_b64 exec, exec, s[4:5]
                                        ; implicit-def: $vgpr6
.LBB9_60:
	s_andn2_saveexec_b64 s[2:3], s[2:3]
; %bb.61:
	s_mov_b32 s4, 0x7f800000
	v_mov_b32_e32 v3, 0x7e
	v_mov_b32_e32 v7, 0x7f
	v_cmp_lt_u32_e32 vcc, s4, v6
	s_nop 1
	v_cndmask_b32_e32 v3, v3, v7, vcc
; %bb.62:
	s_or_b64 exec, exec, s[2:3]
	v_lshrrev_b32_e32 v2, 24, v2
	s_movk_i32 s2, 0x80
	v_and_or_b32 v2, v2, s2, v3
	global_store_byte v[4:5], v2, off
.LBB9_63:
	s_mov_b64 s[2:3], 0
.LBB9_64:
	s_andn2_b64 vcc, exec, s[2:3]
	s_cbranch_vccnz .LBB9_74
; %bb.65:
	v_cvt_f32_f64_e32 v2, v[0:1]
	v_and_b32_e32 v6, 0x7fffffff, v2
	s_mov_b32 s2, 0x47800000
	v_cmp_gt_u32_e32 vcc, s2, v6
                                        ; implicit-def: $vgpr3
	s_and_saveexec_b64 s[2:3], vcc
	s_xor_b64 s[2:3], exec, s[2:3]
	s_cbranch_execz .LBB9_71
; %bb.66:
	s_mov_b32 s4, 0x387fffff
	v_cmp_lt_u32_e32 vcc, s4, v6
                                        ; implicit-def: $vgpr3
	s_and_saveexec_b64 s[4:5], vcc
	s_xor_b64 s[4:5], exec, s[4:5]
; %bb.67:
	v_bfe_u32 v3, v2, 21, 1
	s_mov_b32 s6, 0x80fffff
	v_add3_u32 v3, v2, v3, s6
	v_lshrrev_b32_e32 v3, 21, v3
; %bb.68:
	s_andn2_saveexec_b64 s[4:5], s[4:5]
; %bb.69:
	s_mov_b32 s6, 0x43000000
	v_add_f32_e64 v3, |v2|, s6
; %bb.70:
	s_or_b64 exec, exec, s[4:5]
                                        ; implicit-def: $vgpr6
.LBB9_71:
	s_andn2_saveexec_b64 s[2:3], s[2:3]
; %bb.72:
	s_mov_b32 s4, 0x7f800000
	v_mov_b32_e32 v3, 0x7c
	v_mov_b32_e32 v7, 0x7f
	v_cmp_lt_u32_e32 vcc, s4, v6
	s_nop 1
	v_cndmask_b32_e32 v3, v3, v7, vcc
; %bb.73:
	s_or_b64 exec, exec, s[2:3]
	v_lshrrev_b32_e32 v2, 24, v2
	s_movk_i32 s2, 0x80
	v_and_or_b32 v2, v2, s2, v3
	global_store_byte v[4:5], v2, off
.LBB9_74:
	s_mov_b64 s[4:5], 0
	s_mov_b64 s[2:3], -1
.LBB9_75:
	s_andn2_b64 vcc, exec, s[4:5]
	s_cbranch_vccnz .LBB9_83
; %bb.76:
	s_cmp_gt_i32 s9, 14
	s_mov_b64 s[4:5], -1
	s_cbranch_scc0 .LBB9_80
; %bb.77:
	s_cmp_eq_u32 s9, 15
	s_mov_b64 s[0:1], -1
	s_cbranch_scc0 .LBB9_79
; %bb.78:
	v_cvt_f32_f64_e32 v2, v[0:1]
	v_bfe_u32 v3, v2, 16, 1
	s_movk_i32 s0, 0x7fff
	v_add3_u32 v3, v2, v3, s0
	v_cmp_o_f32_e32 vcc, v2, v2
	v_mov_b32_e32 v2, 0x7fc0
	s_mov_b64 s[2:3], -1
	v_cndmask_b32_sdwa v2, v2, v3, vcc dst_sel:DWORD dst_unused:UNUSED_PAD src0_sel:DWORD src1_sel:WORD_1
	global_store_short v[4:5], v2, off
	s_mov_b64 s[0:1], 0
.LBB9_79:
	s_mov_b64 s[4:5], 0
.LBB9_80:
	s_and_b64 vcc, exec, s[4:5]
	s_cbranch_vccz .LBB9_83
; %bb.81:
	s_cmp_eq_u32 s9, 11
	s_mov_b64 s[0:1], -1
	s_cbranch_scc0 .LBB9_83
; %bb.82:
	v_cmp_neq_f64_e32 vcc, 0, v[0:1]
	s_mov_b64 s[0:1], 0
	s_mov_b64 s[2:3], -1
	v_cndmask_b32_e64 v2, 0, 1, vcc
	global_store_byte v[4:5], v2, off
.LBB9_83:
	s_branch .LBB9_10
.LBB9_84:
	s_and_b32 s4, 0xffff, s8
	s_cmp_lt_i32 s4, 5
	s_mov_b64 s[2:3], -1
	s_cbranch_scc1 .LBB9_105
; %bb.85:
	s_cmp_lt_i32 s4, 8
	s_cbranch_scc1 .LBB9_95
; %bb.86:
	s_cmp_lt_i32 s4, 9
	s_cbranch_scc1 .LBB9_92
; %bb.87:
	s_cmp_gt_i32 s4, 9
	s_cbranch_scc0 .LBB9_89
; %bb.88:
	v_mov_b32_e32 v2, 0
	v_mov_b32_e32 v3, v2
	global_store_dwordx4 v[4:5], v[0:3], off
	s_mov_b64 s[2:3], 0
.LBB9_89:
	s_andn2_b64 vcc, exec, s[2:3]
	s_cbranch_vccnz .LBB9_91
; %bb.90:
	v_cvt_f32_f64_e32 v2, v[0:1]
	v_mov_b32_e32 v3, 0
	global_store_dwordx2 v[4:5], v[2:3], off
.LBB9_91:
	s_mov_b64 s[2:3], 0
.LBB9_92:
	s_andn2_b64 vcc, exec, s[2:3]
	s_cbranch_vccnz .LBB9_94
; %bb.93:
	s_movk_i32 s2, 0x1ff
	v_and_or_b32 v2, v1, s2, v0
	v_cmp_ne_u32_e32 vcc, 0, v2
	v_lshrrev_b32_e32 v3, 8, v1
	s_movk_i32 s2, 0xffe
	v_cndmask_b32_e64 v2, 0, 1, vcc
	v_bfe_u32 v6, v1, 20, 11
	v_and_or_b32 v2, v3, s2, v2
	v_sub_u32_e32 v7, 0x3f1, v6
	v_or_b32_e32 v3, 0x1000, v2
	v_med3_i32 v7, v7, 0, 13
	v_lshrrev_b32_e32 v8, v7, v3
	v_lshlrev_b32_e32 v7, v7, v8
	v_cmp_ne_u32_e32 vcc, v7, v3
	v_add_u32_e32 v6, 0xfffffc10, v6
	v_lshl_or_b32 v7, v6, 12, v2
	v_cndmask_b32_e64 v3, 0, 1, vcc
	v_or_b32_e32 v3, v8, v3
	v_cmp_gt_i32_e32 vcc, 1, v6
	s_movk_i32 s2, 0x40f
	s_nop 0
	v_cndmask_b32_e32 v3, v7, v3, vcc
	v_and_b32_e32 v7, 7, v3
	v_cmp_lt_i32_e32 vcc, 5, v7
	v_lshrrev_b32_e32 v3, 2, v3
	s_nop 0
	v_cndmask_b32_e64 v8, 0, 1, vcc
	v_cmp_eq_u32_e32 vcc, 3, v7
	s_nop 1
	v_cndmask_b32_e64 v7, 0, 1, vcc
	v_or_b32_e32 v7, v7, v8
	v_add_u32_e32 v3, v3, v7
	v_mov_b32_e32 v7, 0x7c00
	v_cmp_gt_i32_e32 vcc, 31, v6
	v_mov_b32_e32 v8, 0x7e00
	s_nop 0
	v_cndmask_b32_e32 v3, v7, v3, vcc
	v_cmp_ne_u32_e32 vcc, 0, v2
	s_nop 1
	v_cndmask_b32_e32 v2, v7, v8, vcc
	v_cmp_eq_u32_e32 vcc, s2, v6
	s_mov_b32 s2, 0x8000
	s_nop 0
	v_cndmask_b32_e32 v2, v3, v2, vcc
	v_and_b32_sdwa v3, v1, s2 dst_sel:DWORD dst_unused:UNUSED_PAD src0_sel:WORD_1 src1_sel:DWORD
	s_mov_b32 s2, 0xffff
	v_bitop3_b32 v2, v3, s2, v2 bitop3:0xc8
	global_store_dword v[4:5], v2, off
.LBB9_94:
	s_mov_b64 s[2:3], 0
.LBB9_95:
	s_andn2_b64 vcc, exec, s[2:3]
	s_cbranch_vccnz .LBB9_104
; %bb.96:
	s_cmp_lt_i32 s4, 6
	s_mov_b64 s[2:3], -1
	s_cbranch_scc1 .LBB9_102
; %bb.97:
	s_cmp_gt_i32 s4, 6
	s_cbranch_scc0 .LBB9_99
; %bb.98:
	global_store_dwordx2 v[4:5], v[0:1], off
	s_mov_b64 s[2:3], 0
.LBB9_99:
	s_andn2_b64 vcc, exec, s[2:3]
	s_cbranch_vccnz .LBB9_101
; %bb.100:
	v_cvt_f32_f64_e32 v2, v[0:1]
	global_store_dword v[4:5], v2, off
.LBB9_101:
	s_mov_b64 s[2:3], 0
.LBB9_102:
	s_andn2_b64 vcc, exec, s[2:3]
	s_cbranch_vccnz .LBB9_104
; %bb.103:
	s_movk_i32 s2, 0x1ff
	v_and_or_b32 v2, v1, s2, v0
	v_cmp_ne_u32_e32 vcc, 0, v2
	v_lshrrev_b32_e32 v3, 8, v1
	s_movk_i32 s2, 0xffe
	v_cndmask_b32_e64 v2, 0, 1, vcc
	v_bfe_u32 v6, v1, 20, 11
	v_and_or_b32 v2, v3, s2, v2
	v_sub_u32_e32 v7, 0x3f1, v6
	v_or_b32_e32 v3, 0x1000, v2
	v_med3_i32 v7, v7, 0, 13
	v_lshrrev_b32_e32 v8, v7, v3
	v_lshlrev_b32_e32 v7, v7, v8
	v_cmp_ne_u32_e32 vcc, v7, v3
	v_add_u32_e32 v6, 0xfffffc10, v6
	v_lshl_or_b32 v7, v6, 12, v2
	v_cndmask_b32_e64 v3, 0, 1, vcc
	v_or_b32_e32 v3, v8, v3
	v_cmp_gt_i32_e32 vcc, 1, v6
	s_movk_i32 s2, 0x40f
	s_nop 0
	v_cndmask_b32_e32 v3, v7, v3, vcc
	v_and_b32_e32 v7, 7, v3
	v_cmp_lt_i32_e32 vcc, 5, v7
	v_lshrrev_b32_e32 v3, 2, v3
	s_nop 0
	v_cndmask_b32_e64 v8, 0, 1, vcc
	v_cmp_eq_u32_e32 vcc, 3, v7
	s_nop 1
	v_cndmask_b32_e64 v7, 0, 1, vcc
	v_or_b32_e32 v7, v7, v8
	v_add_u32_e32 v3, v3, v7
	v_mov_b32_e32 v7, 0x7c00
	v_cmp_gt_i32_e32 vcc, 31, v6
	v_mov_b32_e32 v8, 0x7e00
	s_nop 0
	v_cndmask_b32_e32 v3, v7, v3, vcc
	v_cmp_ne_u32_e32 vcc, 0, v2
	s_nop 1
	v_cndmask_b32_e32 v2, v7, v8, vcc
	v_cmp_eq_u32_e32 vcc, s2, v6
	s_mov_b32 s2, 0x8000
	s_nop 0
	v_cndmask_b32_e32 v2, v3, v2, vcc
	v_lshrrev_b32_e32 v3, 16, v1
	v_and_or_b32 v2, v3, s2, v2
	global_store_short v[4:5], v2, off
.LBB9_104:
	s_mov_b64 s[2:3], 0
.LBB9_105:
	s_andn2_b64 vcc, exec, s[2:3]
	s_cbranch_vccnz .LBB9_121
; %bb.106:
	s_cmp_lt_i32 s4, 2
	s_mov_b64 s[2:3], -1
	s_cbranch_scc1 .LBB9_116
; %bb.107:
	s_cmp_lt_i32 s4, 3
	s_cbranch_scc1 .LBB9_113
; %bb.108:
	s_cmp_gt_i32 s4, 3
	s_cbranch_scc0 .LBB9_110
; %bb.109:
	v_trunc_f64_e32 v[2:3], v[0:1]
	s_movk_i32 s2, 0xffe0
	v_ldexp_f64 v[6:7], v[2:3], s2
	v_floor_f64_e32 v[6:7], v[6:7]
	v_fmac_f64_e32 v[2:3], 0xc1f00000, v[6:7]
	v_cvt_i32_f64_e32 v9, v[6:7]
	v_cvt_u32_f64_e32 v8, v[2:3]
	global_store_dwordx2 v[4:5], v[8:9], off
	s_mov_b64 s[2:3], 0
.LBB9_110:
	s_andn2_b64 vcc, exec, s[2:3]
	s_cbranch_vccnz .LBB9_112
; %bb.111:
	v_cvt_i32_f64_e32 v2, v[0:1]
	global_store_dword v[4:5], v2, off
.LBB9_112:
	s_mov_b64 s[2:3], 0
.LBB9_113:
	s_andn2_b64 vcc, exec, s[2:3]
	s_cbranch_vccnz .LBB9_115
; %bb.114:
	v_cvt_i32_f64_e32 v2, v[0:1]
	global_store_short v[4:5], v2, off
.LBB9_115:
	s_mov_b64 s[2:3], 0
.LBB9_116:
	s_andn2_b64 vcc, exec, s[2:3]
	s_cbranch_vccnz .LBB9_121
; %bb.117:
	s_cmp_gt_i32 s4, 0
	s_mov_b64 s[2:3], -1
	s_cbranch_scc0 .LBB9_119
; %bb.118:
	v_cvt_i32_f64_e32 v2, v[0:1]
	global_store_byte v[4:5], v2, off
	s_mov_b64 s[2:3], 0
.LBB9_119:
	s_andn2_b64 vcc, exec, s[2:3]
	s_cbranch_vccnz .LBB9_121
; %bb.120:
	v_trunc_f64_e32 v[0:1], v[0:1]
	s_movk_i32 s2, 0xffe0
	v_ldexp_f64 v[2:3], v[0:1], s2
	v_floor_f64_e32 v[2:3], v[2:3]
	v_fmac_f64_e32 v[0:1], 0xc1f00000, v[2:3]
	v_cvt_u32_f64_e32 v0, v[0:1]
	global_store_byte v[4:5], v0, off
.LBB9_121:
	s_branch .LBB9_11
.LBB9_122:
	s_mov_b64 s[2:3], 0
                                        ; implicit-def: $vgpr42
.LBB9_123:
	s_and_b64 s[42:43], s[0:1], exec
	s_orn2_b64 s[0:1], s[2:3], exec
.LBB9_124:
	s_or_b64 exec, exec, s[44:45]
	s_mov_b64 s[2:3], 0
                                        ; implicit-def: $sgpr10
                                        ; implicit-def: $vgpr4_vgpr5
                                        ; implicit-def: $vgpr0_vgpr1
	s_and_saveexec_b64 s[44:45], s[0:1]
	s_cbranch_execz .LBB9_133
; %bb.125:
	v_cmp_gt_i32_e32 vcc, s54, v42
	s_mov_b64 s[4:5], -1
	s_mov_b64 s[46:47], s[42:43]
	s_and_saveexec_b64 s[48:49], vcc
	s_cbranch_execz .LBB9_256
; %bb.126:
	s_getpc_b64 s[0:1]
	s_add_u32 s0, s0, _ZN2at6native6invokeIZZZNS0_12_GLOBAL__N_121bessel_y1_kernel_cudaERNS_18TensorIteratorBaseEENKUlvE_clEvENKUlvE_clEvEUldE_i15function_traitsIS7_EEENT1_11result_typeERKT_PrKPcPKT0_PKN3c1010ScalarTypeEi@rel32@lo+4
	s_addc_u32 s1, s1, _ZN2at6native6invokeIZZZNS0_12_GLOBAL__N_121bessel_y1_kernel_cudaERNS_18TensorIteratorBaseEENKUlvE_clEvENKUlvE_clEvEUldE_i15function_traitsIS7_EEENT1_11result_typeERKT_PrKPcPKT0_PKN3c1010ScalarTypeEi@rel32@hi+12
	v_mov_b32_e32 v0, s38
	v_mov_b32_e32 v1, s39
	v_mov_b32_e32 v2, s29
	v_mov_b32_e32 v3, v43
	v_mov_b32_e32 v4, v42
	s_swappc_b64 s[30:31], s[0:1]
	v_mul_lo_u32 v2, v42, s28
	v_ashrrev_i32_e32 v3, 31, v2
	s_and_b32 s8, s33, 0xff
	s_cmp_lt_i32 s8, 11
	v_lshl_add_u64 v[4:5], s[36:37], 0, v[2:3]
	s_cbranch_scc1 .LBB9_136
; %bb.127:
	s_and_b32 s9, 0xffff, s8
	s_cmp_gt_i32 s9, 25
	s_cbranch_scc0 .LBB9_139
; %bb.128:
	s_cmp_gt_i32 s9, 28
	s_cbranch_scc0 .LBB9_140
; %bb.129:
	;; [unrolled: 3-line block ×4, first 2 shown]
	s_mov_b64 s[4:5], 0
	s_mov_b64 s[0:1], -1
	s_cmp_eq_u32 s9, 46
	s_mov_b64 s[2:3], 0
	s_cbranch_scc0 .LBB9_147
; %bb.132:
	v_cvt_f32_f64_e32 v2, v[0:1]
	v_bfe_u32 v3, v2, 16, 1
	s_movk_i32 s0, 0x7fff
	v_add3_u32 v3, v2, v3, s0
	v_cmp_o_f32_e32 vcc, v2, v2
	v_mov_b32_e32 v2, 0x7fc0
	s_mov_b64 s[2:3], -1
	v_cndmask_b32_sdwa v2, v2, v3, vcc dst_sel:DWORD dst_unused:UNUSED_PAD src0_sel:DWORD src1_sel:WORD_1
	global_store_dword v[4:5], v2, off
	s_mov_b64 s[0:1], 0
	s_branch .LBB9_147
.LBB9_133:
	s_or_b64 exec, exec, s[44:45]
	s_mov_b64 s[0:1], 0
	s_and_saveexec_b64 s[4:5], s[42:43]
	s_cbranch_execnz .LBB9_468
.LBB9_134:
	s_or_b64 exec, exec, s[4:5]
	s_and_saveexec_b64 s[4:5], s[48:49]
	s_xor_b64 s[4:5], exec, s[4:5]
	s_cbranch_execz .LBB9_469
.LBB9_135:
	v_cmp_neq_f64_e32 vcc, 0, v[0:1]
	s_nop 1
	v_cndmask_b32_e64 v2, 0, 1, vcc
	global_store_byte v[4:5], v2, off
	s_or_b64 exec, exec, s[4:5]
	s_and_saveexec_b64 s[4:5], s[2:3]
	s_xor_b64 s[2:3], exec, s[4:5]
	s_cbranch_execz .LBB9_507
	s_branch .LBB9_470
.LBB9_136:
	s_mov_b64 s[2:3], 0
	s_mov_b64 s[0:1], s[42:43]
	s_cbranch_execnz .LBB9_216
.LBB9_137:
	s_andn2_b64 vcc, exec, s[2:3]
	s_cbranch_vccnz .LBB9_254
.LBB9_138:
	v_add_u32_e32 v42, 0x80, v42
	s_mov_b64 s[2:3], -1
	s_branch .LBB9_255
.LBB9_139:
	s_mov_b64 s[4:5], -1
	s_mov_b64 s[2:3], 0
	s_mov_b64 s[0:1], s[42:43]
	s_branch .LBB9_174
.LBB9_140:
	s_mov_b64 s[4:5], -1
	s_mov_b64 s[2:3], 0
	s_mov_b64 s[0:1], s[42:43]
	s_branch .LBB9_157
.LBB9_141:
	s_andn2_saveexec_b64 s[6:7], s[6:7]
	s_cbranch_execz .LBB9_37
.LBB9_142:
	s_mov_b32 s10, 0x46000000
	v_add_f32_e64 v3, |v2|, s10
	v_and_b32_e32 v3, 0xff, v3
	v_cmp_ne_u32_e32 vcc, 0, v3
	s_andn2_b64 s[4:5], s[4:5], exec
	s_and_b64 s[10:11], vcc, exec
	s_or_b64 s[4:5], s[4:5], s[10:11]
	s_or_b64 exec, exec, s[6:7]
	v_mov_b32_e32 v6, 0
	s_and_saveexec_b64 s[6:7], s[4:5]
	s_cbranch_execnz .LBB9_38
	s_branch .LBB9_39
.LBB9_143:
	s_mov_b64 s[4:5], -1
	s_mov_b64 s[2:3], 0
	s_mov_b64 s[0:1], s[42:43]
	s_branch .LBB9_153
.LBB9_144:
	s_andn2_saveexec_b64 s[6:7], s[6:7]
	s_cbranch_execz .LBB9_49
.LBB9_145:
	s_mov_b32 s10, 0x42800000
	v_add_f32_e64 v3, |v2|, s10
	v_and_b32_e32 v3, 0xff, v3
	v_cmp_ne_u32_e32 vcc, 0, v3
	s_andn2_b64 s[4:5], s[4:5], exec
	s_and_b64 s[10:11], vcc, exec
	s_or_b64 s[4:5], s[4:5], s[10:11]
	s_or_b64 exec, exec, s[6:7]
	v_mov_b32_e32 v6, 0
	s_and_saveexec_b64 s[6:7], s[4:5]
	s_cbranch_execnz .LBB9_50
	s_branch .LBB9_51
.LBB9_146:
	s_mov_b64 s[4:5], -1
	s_mov_b64 s[2:3], 0
	s_mov_b64 s[0:1], s[42:43]
.LBB9_147:
	s_and_b64 vcc, exec, s[4:5]
	s_cbranch_vccz .LBB9_152
; %bb.148:
	s_cmp_eq_u32 s9, 44
	s_mov_b64 s[0:1], -1
	s_cbranch_scc0 .LBB9_152
; %bb.149:
	v_cvt_f32_f64_e32 v2, v[0:1]
	v_bfe_u32 v3, v2, 23, 8
	s_movk_i32 s0, 0xff
	v_cmp_ne_u32_e32 vcc, s0, v3
	v_mov_b32_e32 v6, 0xff
	s_and_saveexec_b64 s[2:3], vcc
; %bb.150:
	s_mov_b32 s0, 0x3fffff
	v_lshrrev_b32_e32 v6, 23, v2
	v_and_b32_e32 v7, 0x400000, v2
	v_and_or_b32 v2, v2, s0, v3
	v_cmp_ne_u32_e32 vcc, 0, v7
	v_cmp_ne_u32_e64 s[0:1], 0, v2
	s_and_b64 s[0:1], vcc, s[0:1]
	s_nop 0
	v_cndmask_b32_e64 v2, 0, 1, s[0:1]
	v_add_u32_e32 v6, v6, v2
; %bb.151:
	s_or_b64 exec, exec, s[2:3]
	s_mov_b64 s[2:3], -1
	s_mov_b64 s[0:1], 0
	global_store_byte v[4:5], v6, off
.LBB9_152:
	s_mov_b64 s[4:5], 0
.LBB9_153:
	s_and_b64 vcc, exec, s[4:5]
	s_cbranch_vccz .LBB9_156
; %bb.154:
	s_cmp_eq_u32 s9, 29
	s_mov_b64 s[0:1], -1
	s_cbranch_scc0 .LBB9_156
; %bb.155:
	v_trunc_f64_e32 v[2:3], v[0:1]
	s_movk_i32 s0, 0xffe0
	v_ldexp_f64 v[6:7], v[2:3], s0
	v_floor_f64_e32 v[6:7], v[6:7]
	v_fmac_f64_e32 v[2:3], 0xc1f00000, v[6:7]
	v_cvt_u32_f64_e32 v9, v[6:7]
	v_cvt_u32_f64_e32 v8, v[2:3]
	global_store_dwordx2 v[4:5], v[8:9], off
	s_mov_b64 s[2:3], -1
	s_mov_b64 s[0:1], 0
.LBB9_156:
	s_mov_b64 s[4:5], 0
.LBB9_157:
	s_and_b64 vcc, exec, s[4:5]
	s_cbranch_vccz .LBB9_173
; %bb.158:
	s_cmp_lt_i32 s9, 27
	s_mov_b64 s[2:3], -1
	s_cbranch_scc1 .LBB9_164
; %bb.159:
	s_cmp_gt_i32 s9, 27
	v_cvt_u32_f64_e32 v2, v[0:1]
	s_cbranch_scc0 .LBB9_161
; %bb.160:
	s_mov_b64 s[2:3], 0
	global_store_dword v[4:5], v2, off
.LBB9_161:
	s_andn2_b64 vcc, exec, s[2:3]
	s_cbranch_vccnz .LBB9_163
; %bb.162:
	global_store_short v[4:5], v2, off
.LBB9_163:
	s_mov_b64 s[2:3], 0
.LBB9_164:
	s_andn2_b64 vcc, exec, s[2:3]
	s_cbranch_vccnz .LBB9_172
; %bb.165:
	v_cvt_f32_f64_e32 v2, v[0:1]
	v_and_b32_e32 v3, 0x7fffffff, v2
	s_mov_b32 s2, 0x43800000
	v_cmp_gt_u32_e32 vcc, s2, v3
	v_mov_b32_e32 v6, 0x80
	s_and_saveexec_b64 s[2:3], vcc
	s_cbranch_execz .LBB9_171
; %bb.166:
	s_mov_b32 s4, 0x3bffffff
	v_cmp_lt_u32_e32 vcc, s4, v3
	s_mov_b64 s[4:5], 0
                                        ; implicit-def: $vgpr3
	s_and_saveexec_b64 s[6:7], vcc
	s_xor_b64 s[6:7], exec, s[6:7]
	s_cbranch_execz .LBB9_268
; %bb.167:
	v_bfe_u32 v3, v2, 20, 1
	s_mov_b32 s10, 0x487ffff
	v_add3_u32 v3, v2, v3, s10
	s_mov_b64 s[4:5], exec
	v_lshrrev_b32_e32 v3, 20, v3
	s_andn2_saveexec_b64 s[6:7], s[6:7]
	s_cbranch_execnz .LBB9_269
.LBB9_168:
	s_or_b64 exec, exec, s[6:7]
	v_mov_b32_e32 v6, 0
	s_and_saveexec_b64 s[6:7], s[4:5]
.LBB9_169:
	v_lshrrev_b32_e32 v2, 24, v2
	s_movk_i32 s4, 0x80
	v_and_or_b32 v6, v2, s4, v3
.LBB9_170:
	s_or_b64 exec, exec, s[6:7]
.LBB9_171:
	s_or_b64 exec, exec, s[2:3]
	global_store_byte v[4:5], v6, off
.LBB9_172:
	s_mov_b64 s[2:3], -1
.LBB9_173:
	s_mov_b64 s[4:5], 0
.LBB9_174:
	s_and_b64 vcc, exec, s[4:5]
	s_cbranch_vccz .LBB9_215
; %bb.175:
	s_cmp_gt_i32 s9, 22
	s_mov_b64 s[4:5], -1
	s_cbranch_scc0 .LBB9_207
; %bb.176:
	s_cmp_lt_i32 s9, 24
	s_mov_b64 s[2:3], -1
	s_cbranch_scc1 .LBB9_196
; %bb.177:
	s_cmp_gt_i32 s9, 24
	s_cbranch_scc0 .LBB9_185
; %bb.178:
	v_cvt_f32_f64_e32 v2, v[0:1]
	v_and_b32_e32 v3, 0x7fffffff, v2
	s_mov_b32 s2, 0x47800000
	v_cmp_gt_u32_e32 vcc, s2, v3
	v_mov_b32_e32 v6, 0x80
	s_and_saveexec_b64 s[2:3], vcc
	s_cbranch_execz .LBB9_184
; %bb.179:
	s_mov_b32 s4, 0x37ffffff
	v_cmp_lt_u32_e32 vcc, s4, v3
	s_mov_b64 s[4:5], 0
                                        ; implicit-def: $vgpr3
	s_and_saveexec_b64 s[6:7], vcc
	s_xor_b64 s[6:7], exec, s[6:7]
	s_cbranch_execz .LBB9_271
; %bb.180:
	v_bfe_u32 v3, v2, 21, 1
	s_mov_b32 s10, 0x88fffff
	v_add3_u32 v3, v2, v3, s10
	s_mov_b64 s[4:5], exec
	v_lshrrev_b32_e32 v3, 21, v3
	s_andn2_saveexec_b64 s[6:7], s[6:7]
	s_cbranch_execnz .LBB9_272
.LBB9_181:
	s_or_b64 exec, exec, s[6:7]
	v_mov_b32_e32 v6, 0
	s_and_saveexec_b64 s[6:7], s[4:5]
.LBB9_182:
	v_lshrrev_b32_e32 v2, 24, v2
	s_movk_i32 s4, 0x80
	v_and_or_b32 v6, v2, s4, v3
.LBB9_183:
	s_or_b64 exec, exec, s[6:7]
.LBB9_184:
	s_or_b64 exec, exec, s[2:3]
	s_mov_b64 s[2:3], 0
	global_store_byte v[4:5], v6, off
.LBB9_185:
	s_and_b64 vcc, exec, s[2:3]
	s_cbranch_vccz .LBB9_195
; %bb.186:
	v_cvt_f32_f64_e32 v2, v[0:1]
	v_and_b32_e32 v6, 0x7fffffff, v2
	s_mov_b32 s2, 0x43f00000
	v_cmp_gt_u32_e32 vcc, s2, v6
                                        ; implicit-def: $vgpr3
	s_and_saveexec_b64 s[2:3], vcc
	s_xor_b64 s[2:3], exec, s[2:3]
	s_cbranch_execz .LBB9_192
; %bb.187:
	s_mov_b32 s4, 0x3c7fffff
	v_cmp_lt_u32_e32 vcc, s4, v6
                                        ; implicit-def: $vgpr3
	s_and_saveexec_b64 s[4:5], vcc
	s_xor_b64 s[4:5], exec, s[4:5]
; %bb.188:
	v_bfe_u32 v3, v2, 20, 1
	s_mov_b32 s6, 0x407ffff
	v_add3_u32 v3, v2, v3, s6
	v_lshrrev_b32_e32 v6, 20, v3
	v_and_b32_e32 v3, 0xff00000, v3
	s_mov_b32 s6, 0x7f00000
	v_mov_b32_e32 v7, 0x7e
	v_cmp_ne_u32_e32 vcc, s6, v3
	s_nop 1
	v_cndmask_b32_e32 v3, v7, v6, vcc
; %bb.189:
	s_andn2_saveexec_b64 s[4:5], s[4:5]
; %bb.190:
	s_mov_b32 s6, 0x46800000
	v_add_f32_e64 v3, |v2|, s6
; %bb.191:
	s_or_b64 exec, exec, s[4:5]
                                        ; implicit-def: $vgpr6
.LBB9_192:
	s_andn2_saveexec_b64 s[2:3], s[2:3]
; %bb.193:
	s_mov_b32 s4, 0x7f800000
	v_mov_b32_e32 v3, 0x7e
	v_mov_b32_e32 v7, 0x7f
	v_cmp_lt_u32_e32 vcc, s4, v6
	s_nop 1
	v_cndmask_b32_e32 v3, v3, v7, vcc
; %bb.194:
	s_or_b64 exec, exec, s[2:3]
	v_lshrrev_b32_e32 v2, 24, v2
	s_movk_i32 s2, 0x80
	v_and_or_b32 v2, v2, s2, v3
	global_store_byte v[4:5], v2, off
.LBB9_195:
	s_mov_b64 s[2:3], 0
.LBB9_196:
	s_andn2_b64 vcc, exec, s[2:3]
	s_cbranch_vccnz .LBB9_206
; %bb.197:
	v_cvt_f32_f64_e32 v2, v[0:1]
	v_and_b32_e32 v6, 0x7fffffff, v2
	s_mov_b32 s2, 0x47800000
	v_cmp_gt_u32_e32 vcc, s2, v6
                                        ; implicit-def: $vgpr3
	s_and_saveexec_b64 s[2:3], vcc
	s_xor_b64 s[2:3], exec, s[2:3]
	s_cbranch_execz .LBB9_203
; %bb.198:
	s_mov_b32 s4, 0x387fffff
	v_cmp_lt_u32_e32 vcc, s4, v6
                                        ; implicit-def: $vgpr3
	s_and_saveexec_b64 s[4:5], vcc
	s_xor_b64 s[4:5], exec, s[4:5]
; %bb.199:
	v_bfe_u32 v3, v2, 21, 1
	s_mov_b32 s6, 0x80fffff
	v_add3_u32 v3, v2, v3, s6
	v_lshrrev_b32_e32 v3, 21, v3
; %bb.200:
	s_andn2_saveexec_b64 s[4:5], s[4:5]
; %bb.201:
	s_mov_b32 s6, 0x43000000
	v_add_f32_e64 v3, |v2|, s6
; %bb.202:
	s_or_b64 exec, exec, s[4:5]
                                        ; implicit-def: $vgpr6
.LBB9_203:
	s_andn2_saveexec_b64 s[2:3], s[2:3]
; %bb.204:
	s_mov_b32 s4, 0x7f800000
	v_mov_b32_e32 v3, 0x7c
	v_mov_b32_e32 v7, 0x7f
	v_cmp_lt_u32_e32 vcc, s4, v6
	s_nop 1
	v_cndmask_b32_e32 v3, v3, v7, vcc
; %bb.205:
	s_or_b64 exec, exec, s[2:3]
	v_lshrrev_b32_e32 v2, 24, v2
	s_movk_i32 s2, 0x80
	v_and_or_b32 v2, v2, s2, v3
	global_store_byte v[4:5], v2, off
.LBB9_206:
	s_mov_b64 s[4:5], 0
	s_mov_b64 s[2:3], -1
.LBB9_207:
	s_andn2_b64 vcc, exec, s[4:5]
	s_cbranch_vccnz .LBB9_215
; %bb.208:
	s_cmp_gt_i32 s9, 14
	s_mov_b64 s[4:5], -1
	s_cbranch_scc0 .LBB9_212
; %bb.209:
	s_cmp_eq_u32 s9, 15
	s_mov_b64 s[0:1], -1
	s_cbranch_scc0 .LBB9_211
; %bb.210:
	v_cvt_f32_f64_e32 v2, v[0:1]
	v_bfe_u32 v3, v2, 16, 1
	s_movk_i32 s0, 0x7fff
	v_add3_u32 v3, v2, v3, s0
	v_cmp_o_f32_e32 vcc, v2, v2
	v_mov_b32_e32 v2, 0x7fc0
	s_mov_b64 s[2:3], -1
	v_cndmask_b32_sdwa v2, v2, v3, vcc dst_sel:DWORD dst_unused:UNUSED_PAD src0_sel:DWORD src1_sel:WORD_1
	global_store_short v[4:5], v2, off
	s_mov_b64 s[0:1], 0
.LBB9_211:
	s_mov_b64 s[4:5], 0
.LBB9_212:
	s_and_b64 vcc, exec, s[4:5]
	s_cbranch_vccz .LBB9_215
; %bb.213:
	s_cmp_eq_u32 s9, 11
	s_mov_b64 s[0:1], -1
	s_cbranch_scc0 .LBB9_215
; %bb.214:
	v_cmp_neq_f64_e32 vcc, 0, v[0:1]
	s_mov_b64 s[0:1], 0
	s_mov_b64 s[2:3], -1
	v_cndmask_b32_e64 v2, 0, 1, vcc
	global_store_byte v[4:5], v2, off
.LBB9_215:
	s_branch .LBB9_137
.LBB9_216:
	s_and_b32 s4, 0xffff, s8
	s_cmp_lt_i32 s4, 5
	s_mov_b64 s[2:3], -1
	s_cbranch_scc1 .LBB9_237
; %bb.217:
	s_cmp_lt_i32 s4, 8
	s_cbranch_scc1 .LBB9_227
; %bb.218:
	s_cmp_lt_i32 s4, 9
	s_cbranch_scc1 .LBB9_224
; %bb.219:
	s_cmp_gt_i32 s4, 9
	s_cbranch_scc0 .LBB9_221
; %bb.220:
	v_mov_b32_e32 v2, 0
	v_mov_b32_e32 v3, v2
	s_mov_b64 s[2:3], 0
	global_store_dwordx4 v[4:5], v[0:3], off
.LBB9_221:
	s_andn2_b64 vcc, exec, s[2:3]
	s_cbranch_vccnz .LBB9_223
; %bb.222:
	v_cvt_f32_f64_e32 v2, v[0:1]
	v_mov_b32_e32 v3, 0
	global_store_dwordx2 v[4:5], v[2:3], off
.LBB9_223:
	s_mov_b64 s[2:3], 0
.LBB9_224:
	s_andn2_b64 vcc, exec, s[2:3]
	s_cbranch_vccnz .LBB9_226
; %bb.225:
	s_movk_i32 s2, 0x1ff
	v_and_or_b32 v2, v1, s2, v0
	v_cmp_ne_u32_e32 vcc, 0, v2
	v_lshrrev_b32_e32 v3, 8, v1
	s_movk_i32 s2, 0xffe
	v_cndmask_b32_e64 v2, 0, 1, vcc
	v_bfe_u32 v6, v1, 20, 11
	v_and_or_b32 v2, v3, s2, v2
	v_sub_u32_e32 v7, 0x3f1, v6
	v_or_b32_e32 v3, 0x1000, v2
	v_med3_i32 v7, v7, 0, 13
	v_lshrrev_b32_e32 v8, v7, v3
	v_lshlrev_b32_e32 v7, v7, v8
	v_cmp_ne_u32_e32 vcc, v7, v3
	v_add_u32_e32 v6, 0xfffffc10, v6
	v_lshl_or_b32 v7, v6, 12, v2
	v_cndmask_b32_e64 v3, 0, 1, vcc
	v_or_b32_e32 v3, v8, v3
	v_cmp_gt_i32_e32 vcc, 1, v6
	s_movk_i32 s2, 0x40f
	s_nop 0
	v_cndmask_b32_e32 v3, v7, v3, vcc
	v_and_b32_e32 v7, 7, v3
	v_cmp_lt_i32_e32 vcc, 5, v7
	v_lshrrev_b32_e32 v3, 2, v3
	s_nop 0
	v_cndmask_b32_e64 v8, 0, 1, vcc
	v_cmp_eq_u32_e32 vcc, 3, v7
	s_nop 1
	v_cndmask_b32_e64 v7, 0, 1, vcc
	v_or_b32_e32 v7, v7, v8
	v_add_u32_e32 v3, v3, v7
	v_mov_b32_e32 v7, 0x7c00
	v_cmp_gt_i32_e32 vcc, 31, v6
	v_mov_b32_e32 v8, 0x7e00
	s_nop 0
	v_cndmask_b32_e32 v3, v7, v3, vcc
	v_cmp_ne_u32_e32 vcc, 0, v2
	s_nop 1
	v_cndmask_b32_e32 v2, v7, v8, vcc
	v_cmp_eq_u32_e32 vcc, s2, v6
	s_mov_b32 s2, 0x8000
	s_nop 0
	v_cndmask_b32_e32 v2, v3, v2, vcc
	v_and_b32_sdwa v3, v1, s2 dst_sel:DWORD dst_unused:UNUSED_PAD src0_sel:WORD_1 src1_sel:DWORD
	s_mov_b32 s2, 0xffff
	v_bitop3_b32 v2, v3, s2, v2 bitop3:0xc8
	global_store_dword v[4:5], v2, off
.LBB9_226:
	s_mov_b64 s[2:3], 0
.LBB9_227:
	s_andn2_b64 vcc, exec, s[2:3]
	s_cbranch_vccnz .LBB9_236
; %bb.228:
	s_cmp_lt_i32 s4, 6
	s_mov_b64 s[2:3], -1
	s_cbranch_scc1 .LBB9_234
; %bb.229:
	s_cmp_gt_i32 s4, 6
	s_cbranch_scc0 .LBB9_231
; %bb.230:
	s_mov_b64 s[2:3], 0
	global_store_dwordx2 v[4:5], v[0:1], off
.LBB9_231:
	s_andn2_b64 vcc, exec, s[2:3]
	s_cbranch_vccnz .LBB9_233
; %bb.232:
	v_cvt_f32_f64_e32 v2, v[0:1]
	global_store_dword v[4:5], v2, off
.LBB9_233:
	s_mov_b64 s[2:3], 0
.LBB9_234:
	s_andn2_b64 vcc, exec, s[2:3]
	s_cbranch_vccnz .LBB9_236
; %bb.235:
	s_movk_i32 s2, 0x1ff
	v_and_or_b32 v2, v1, s2, v0
	v_cmp_ne_u32_e32 vcc, 0, v2
	v_lshrrev_b32_e32 v3, 8, v1
	s_movk_i32 s2, 0xffe
	v_cndmask_b32_e64 v2, 0, 1, vcc
	v_bfe_u32 v6, v1, 20, 11
	v_and_or_b32 v2, v3, s2, v2
	v_sub_u32_e32 v7, 0x3f1, v6
	v_or_b32_e32 v3, 0x1000, v2
	v_med3_i32 v7, v7, 0, 13
	v_lshrrev_b32_e32 v8, v7, v3
	v_lshlrev_b32_e32 v7, v7, v8
	v_cmp_ne_u32_e32 vcc, v7, v3
	v_add_u32_e32 v6, 0xfffffc10, v6
	v_lshl_or_b32 v7, v6, 12, v2
	v_cndmask_b32_e64 v3, 0, 1, vcc
	v_or_b32_e32 v3, v8, v3
	v_cmp_gt_i32_e32 vcc, 1, v6
	s_movk_i32 s2, 0x40f
	s_nop 0
	v_cndmask_b32_e32 v3, v7, v3, vcc
	v_and_b32_e32 v7, 7, v3
	v_cmp_lt_i32_e32 vcc, 5, v7
	v_lshrrev_b32_e32 v3, 2, v3
	s_nop 0
	v_cndmask_b32_e64 v8, 0, 1, vcc
	v_cmp_eq_u32_e32 vcc, 3, v7
	s_nop 1
	v_cndmask_b32_e64 v7, 0, 1, vcc
	v_or_b32_e32 v7, v7, v8
	v_add_u32_e32 v3, v3, v7
	v_mov_b32_e32 v7, 0x7c00
	v_cmp_gt_i32_e32 vcc, 31, v6
	v_mov_b32_e32 v8, 0x7e00
	s_nop 0
	v_cndmask_b32_e32 v3, v7, v3, vcc
	v_cmp_ne_u32_e32 vcc, 0, v2
	s_nop 1
	v_cndmask_b32_e32 v2, v7, v8, vcc
	v_cmp_eq_u32_e32 vcc, s2, v6
	s_mov_b32 s2, 0x8000
	s_nop 0
	v_cndmask_b32_e32 v2, v3, v2, vcc
	v_lshrrev_b32_e32 v3, 16, v1
	v_and_or_b32 v2, v3, s2, v2
	global_store_short v[4:5], v2, off
.LBB9_236:
	s_mov_b64 s[2:3], 0
.LBB9_237:
	s_andn2_b64 vcc, exec, s[2:3]
	s_cbranch_vccnz .LBB9_253
; %bb.238:
	s_cmp_lt_i32 s4, 2
	s_mov_b64 s[2:3], -1
	s_cbranch_scc1 .LBB9_248
; %bb.239:
	s_cmp_lt_i32 s4, 3
	s_cbranch_scc1 .LBB9_245
; %bb.240:
	s_cmp_gt_i32 s4, 3
	s_cbranch_scc0 .LBB9_242
; %bb.241:
	v_trunc_f64_e32 v[2:3], v[0:1]
	s_movk_i32 s2, 0xffe0
	v_ldexp_f64 v[6:7], v[2:3], s2
	v_floor_f64_e32 v[6:7], v[6:7]
	v_fmac_f64_e32 v[2:3], 0xc1f00000, v[6:7]
	v_cvt_i32_f64_e32 v9, v[6:7]
	v_cvt_u32_f64_e32 v8, v[2:3]
	s_mov_b64 s[2:3], 0
	global_store_dwordx2 v[4:5], v[8:9], off
.LBB9_242:
	s_andn2_b64 vcc, exec, s[2:3]
	s_cbranch_vccnz .LBB9_244
; %bb.243:
	v_cvt_i32_f64_e32 v2, v[0:1]
	global_store_dword v[4:5], v2, off
.LBB9_244:
	s_mov_b64 s[2:3], 0
.LBB9_245:
	s_andn2_b64 vcc, exec, s[2:3]
	s_cbranch_vccnz .LBB9_247
; %bb.246:
	v_cvt_i32_f64_e32 v2, v[0:1]
	global_store_short v[4:5], v2, off
.LBB9_247:
	s_mov_b64 s[2:3], 0
.LBB9_248:
	s_andn2_b64 vcc, exec, s[2:3]
	s_cbranch_vccnz .LBB9_253
; %bb.249:
	s_cmp_gt_i32 s4, 0
	s_mov_b64 s[2:3], -1
	s_cbranch_scc0 .LBB9_251
; %bb.250:
	v_cvt_i32_f64_e32 v2, v[0:1]
	s_mov_b64 s[2:3], 0
	global_store_byte v[4:5], v2, off
.LBB9_251:
	s_andn2_b64 vcc, exec, s[2:3]
	s_cbranch_vccnz .LBB9_253
; %bb.252:
	v_trunc_f64_e32 v[0:1], v[0:1]
	s_movk_i32 s2, 0xffe0
	v_ldexp_f64 v[2:3], v[0:1], s2
	v_floor_f64_e32 v[2:3], v[2:3]
	v_fmac_f64_e32 v[0:1], 0xc1f00000, v[2:3]
	v_cvt_u32_f64_e32 v0, v[0:1]
	global_store_byte v[4:5], v0, off
.LBB9_253:
	s_branch .LBB9_138
.LBB9_254:
	s_mov_b64 s[2:3], 0
                                        ; implicit-def: $vgpr42
.LBB9_255:
	s_andn2_b64 s[4:5], s[42:43], exec
	s_and_b64 s[0:1], s[0:1], exec
	s_or_b64 s[46:47], s[4:5], s[0:1]
	s_orn2_b64 s[4:5], s[2:3], exec
.LBB9_256:
	s_or_b64 exec, exec, s[48:49]
	s_mov_b64 s[0:1], 0
	s_mov_b64 s[2:3], 0
                                        ; implicit-def: $sgpr10
                                        ; implicit-def: $vgpr4_vgpr5
                                        ; implicit-def: $vgpr0_vgpr1
	s_and_saveexec_b64 s[48:49], s[4:5]
	s_cbranch_execz .LBB9_467
; %bb.257:
	v_cmp_gt_i32_e32 vcc, s54, v42
	s_mov_b64 s[2:3], -1
	s_mov_b64 s[52:53], s[46:47]
	s_and_saveexec_b64 s[50:51], vcc
	s_cbranch_execz .LBB9_386
; %bb.258:
	s_getpc_b64 s[0:1]
	s_add_u32 s0, s0, _ZN2at6native6invokeIZZZNS0_12_GLOBAL__N_121bessel_y1_kernel_cudaERNS_18TensorIteratorBaseEENKUlvE_clEvENKUlvE_clEvEUldE_i15function_traitsIS7_EEENT1_11result_typeERKT_PrKPcPKT0_PKN3c1010ScalarTypeEi@rel32@lo+4
	s_addc_u32 s1, s1, _ZN2at6native6invokeIZZZNS0_12_GLOBAL__N_121bessel_y1_kernel_cudaERNS_18TensorIteratorBaseEENKUlvE_clEvENKUlvE_clEvEUldE_i15function_traitsIS7_EEENT1_11result_typeERKT_PrKPcPKT0_PKN3c1010ScalarTypeEi@rel32@hi+12
	v_mov_b32_e32 v0, s38
	v_mov_b32_e32 v1, s39
	;; [unrolled: 1-line block ×5, first 2 shown]
	s_swappc_b64 s[30:31], s[0:1]
	v_mul_lo_u32 v2, v42, s28
	v_ashrrev_i32_e32 v3, 31, v2
	s_and_b32 s8, s33, 0xff
	s_cmp_lt_i32 s8, 11
	v_lshl_add_u64 v[4:5], s[36:37], 0, v[2:3]
	s_cbranch_scc1 .LBB9_265
; %bb.259:
	s_and_b32 s9, 0xffff, s8
	s_cmp_gt_i32 s9, 25
	s_cbranch_scc0 .LBB9_266
; %bb.260:
	s_cmp_gt_i32 s9, 28
	s_cbranch_scc0 .LBB9_267
; %bb.261:
	;; [unrolled: 3-line block ×4, first 2 shown]
	s_mov_b64 s[4:5], 0
	s_mov_b64 s[0:1], -1
	s_cmp_eq_u32 s9, 46
	s_mov_b64 s[2:3], 0
	s_cbranch_scc0 .LBB9_274
; %bb.264:
	v_cvt_f32_f64_e32 v2, v[0:1]
	v_bfe_u32 v3, v2, 16, 1
	s_movk_i32 s0, 0x7fff
	v_add3_u32 v3, v2, v3, s0
	v_cmp_o_f32_e32 vcc, v2, v2
	v_mov_b32_e32 v2, 0x7fc0
	s_mov_b64 s[2:3], -1
	v_cndmask_b32_sdwa v2, v2, v3, vcc dst_sel:DWORD dst_unused:UNUSED_PAD src0_sel:DWORD src1_sel:WORD_1
	global_store_dword v[4:5], v2, off
	s_mov_b64 s[0:1], 0
	s_branch .LBB9_274
.LBB9_265:
	s_mov_b64 s[4:5], -1
	s_mov_b64 s[2:3], 0
	s_mov_b64 s[0:1], s[46:47]
	s_branch .LBB9_343
.LBB9_266:
	s_mov_b64 s[4:5], -1
	s_mov_b64 s[2:3], 0
	s_mov_b64 s[0:1], s[46:47]
	s_branch .LBB9_301
.LBB9_267:
	s_mov_b64 s[4:5], -1
	s_mov_b64 s[2:3], 0
	s_mov_b64 s[0:1], s[46:47]
	s_branch .LBB9_284
.LBB9_268:
	s_andn2_saveexec_b64 s[6:7], s[6:7]
	s_cbranch_execz .LBB9_168
.LBB9_269:
	s_mov_b32 s10, 0x46000000
	v_add_f32_e64 v3, |v2|, s10
	v_and_b32_e32 v3, 0xff, v3
	v_cmp_ne_u32_e32 vcc, 0, v3
	s_andn2_b64 s[4:5], s[4:5], exec
	s_and_b64 s[10:11], vcc, exec
	s_or_b64 s[4:5], s[4:5], s[10:11]
	s_or_b64 exec, exec, s[6:7]
	v_mov_b32_e32 v6, 0
	s_and_saveexec_b64 s[6:7], s[4:5]
	s_cbranch_execnz .LBB9_169
	s_branch .LBB9_170
.LBB9_270:
	s_mov_b64 s[4:5], -1
	s_mov_b64 s[2:3], 0
	s_mov_b64 s[0:1], s[46:47]
	s_branch .LBB9_280
.LBB9_271:
	s_andn2_saveexec_b64 s[6:7], s[6:7]
	s_cbranch_execz .LBB9_181
.LBB9_272:
	s_mov_b32 s10, 0x42800000
	v_add_f32_e64 v3, |v2|, s10
	v_and_b32_e32 v3, 0xff, v3
	v_cmp_ne_u32_e32 vcc, 0, v3
	s_andn2_b64 s[4:5], s[4:5], exec
	s_and_b64 s[10:11], vcc, exec
	s_or_b64 s[4:5], s[4:5], s[10:11]
	s_or_b64 exec, exec, s[6:7]
	v_mov_b32_e32 v6, 0
	s_and_saveexec_b64 s[6:7], s[4:5]
	s_cbranch_execnz .LBB9_182
	s_branch .LBB9_183
.LBB9_273:
	s_mov_b64 s[4:5], -1
	s_mov_b64 s[2:3], 0
	s_mov_b64 s[0:1], s[46:47]
.LBB9_274:
	s_and_b64 vcc, exec, s[4:5]
	s_cbranch_vccz .LBB9_279
; %bb.275:
	s_cmp_eq_u32 s9, 44
	s_mov_b64 s[0:1], -1
	s_cbranch_scc0 .LBB9_279
; %bb.276:
	v_cvt_f32_f64_e32 v2, v[0:1]
	v_bfe_u32 v3, v2, 23, 8
	s_movk_i32 s0, 0xff
	v_cmp_ne_u32_e32 vcc, s0, v3
	v_mov_b32_e32 v6, 0xff
	s_and_saveexec_b64 s[2:3], vcc
; %bb.277:
	s_mov_b32 s0, 0x3fffff
	v_lshrrev_b32_e32 v6, 23, v2
	v_and_b32_e32 v7, 0x400000, v2
	v_and_or_b32 v2, v2, s0, v3
	v_cmp_ne_u32_e32 vcc, 0, v7
	v_cmp_ne_u32_e64 s[0:1], 0, v2
	s_and_b64 s[0:1], vcc, s[0:1]
	s_nop 0
	v_cndmask_b32_e64 v2, 0, 1, s[0:1]
	v_add_u32_e32 v6, v6, v2
; %bb.278:
	s_or_b64 exec, exec, s[2:3]
	s_mov_b64 s[2:3], -1
	s_mov_b64 s[0:1], 0
	global_store_byte v[4:5], v6, off
.LBB9_279:
	s_mov_b64 s[4:5], 0
.LBB9_280:
	s_and_b64 vcc, exec, s[4:5]
	s_cbranch_vccz .LBB9_283
; %bb.281:
	s_cmp_eq_u32 s9, 29
	s_mov_b64 s[0:1], -1
	s_cbranch_scc0 .LBB9_283
; %bb.282:
	v_trunc_f64_e32 v[2:3], v[0:1]
	s_movk_i32 s0, 0xffe0
	v_ldexp_f64 v[6:7], v[2:3], s0
	v_floor_f64_e32 v[6:7], v[6:7]
	v_fmac_f64_e32 v[2:3], 0xc1f00000, v[6:7]
	v_cvt_u32_f64_e32 v9, v[6:7]
	v_cvt_u32_f64_e32 v8, v[2:3]
	global_store_dwordx2 v[4:5], v[8:9], off
	s_mov_b64 s[2:3], -1
	s_mov_b64 s[0:1], 0
.LBB9_283:
	s_mov_b64 s[4:5], 0
.LBB9_284:
	s_and_b64 vcc, exec, s[4:5]
	s_cbranch_vccz .LBB9_300
; %bb.285:
	s_cmp_lt_i32 s9, 27
	s_mov_b64 s[2:3], -1
	s_cbranch_scc1 .LBB9_291
; %bb.286:
	s_cmp_gt_i32 s9, 27
	v_cvt_u32_f64_e32 v2, v[0:1]
	s_cbranch_scc0 .LBB9_288
; %bb.287:
	s_mov_b64 s[2:3], 0
	global_store_dword v[4:5], v2, off
.LBB9_288:
	s_andn2_b64 vcc, exec, s[2:3]
	s_cbranch_vccnz .LBB9_290
; %bb.289:
	global_store_short v[4:5], v2, off
.LBB9_290:
	s_mov_b64 s[2:3], 0
.LBB9_291:
	s_andn2_b64 vcc, exec, s[2:3]
	s_cbranch_vccnz .LBB9_299
; %bb.292:
	v_cvt_f32_f64_e32 v2, v[0:1]
	v_and_b32_e32 v3, 0x7fffffff, v2
	s_mov_b32 s2, 0x43800000
	v_cmp_gt_u32_e32 vcc, s2, v3
	v_mov_b32_e32 v6, 0x80
	s_and_saveexec_b64 s[2:3], vcc
	s_cbranch_execz .LBB9_298
; %bb.293:
	s_mov_b32 s4, 0x3bffffff
	v_cmp_lt_u32_e32 vcc, s4, v3
	s_mov_b64 s[4:5], 0
                                        ; implicit-def: $vgpr3
	s_and_saveexec_b64 s[6:7], vcc
	s_xor_b64 s[6:7], exec, s[6:7]
	s_cbranch_execz .LBB9_998
; %bb.294:
	v_bfe_u32 v3, v2, 20, 1
	s_mov_b32 s10, 0x487ffff
	v_add3_u32 v3, v2, v3, s10
	s_mov_b64 s[4:5], exec
	v_lshrrev_b32_e32 v3, 20, v3
	s_andn2_saveexec_b64 s[6:7], s[6:7]
	s_cbranch_execnz .LBB9_999
.LBB9_295:
	s_or_b64 exec, exec, s[6:7]
	v_mov_b32_e32 v6, 0
	s_and_saveexec_b64 s[6:7], s[4:5]
.LBB9_296:
	v_lshrrev_b32_e32 v2, 24, v2
	s_movk_i32 s4, 0x80
	v_and_or_b32 v6, v2, s4, v3
.LBB9_297:
	s_or_b64 exec, exec, s[6:7]
.LBB9_298:
	s_or_b64 exec, exec, s[2:3]
	global_store_byte v[4:5], v6, off
.LBB9_299:
	s_mov_b64 s[2:3], -1
.LBB9_300:
	s_mov_b64 s[4:5], 0
.LBB9_301:
	s_and_b64 vcc, exec, s[4:5]
	s_cbranch_vccz .LBB9_342
; %bb.302:
	s_cmp_gt_i32 s9, 22
	s_mov_b64 s[4:5], -1
	s_cbranch_scc0 .LBB9_334
; %bb.303:
	s_cmp_lt_i32 s9, 24
	s_mov_b64 s[2:3], -1
	s_cbranch_scc1 .LBB9_323
; %bb.304:
	s_cmp_gt_i32 s9, 24
	s_cbranch_scc0 .LBB9_312
; %bb.305:
	v_cvt_f32_f64_e32 v2, v[0:1]
	v_and_b32_e32 v3, 0x7fffffff, v2
	s_mov_b32 s2, 0x47800000
	v_cmp_gt_u32_e32 vcc, s2, v3
	v_mov_b32_e32 v6, 0x80
	s_and_saveexec_b64 s[2:3], vcc
	s_cbranch_execz .LBB9_311
; %bb.306:
	s_mov_b32 s4, 0x37ffffff
	v_cmp_lt_u32_e32 vcc, s4, v3
	s_mov_b64 s[4:5], 0
                                        ; implicit-def: $vgpr3
	s_and_saveexec_b64 s[6:7], vcc
	s_xor_b64 s[6:7], exec, s[6:7]
	s_cbranch_execz .LBB9_1005
; %bb.307:
	v_bfe_u32 v3, v2, 21, 1
	s_mov_b32 s10, 0x88fffff
	v_add3_u32 v3, v2, v3, s10
	s_mov_b64 s[4:5], exec
	v_lshrrev_b32_e32 v3, 21, v3
	s_andn2_saveexec_b64 s[6:7], s[6:7]
	s_cbranch_execnz .LBB9_1006
.LBB9_308:
	s_or_b64 exec, exec, s[6:7]
	v_mov_b32_e32 v6, 0
	s_and_saveexec_b64 s[6:7], s[4:5]
.LBB9_309:
	v_lshrrev_b32_e32 v2, 24, v2
	s_movk_i32 s4, 0x80
	v_and_or_b32 v6, v2, s4, v3
.LBB9_310:
	s_or_b64 exec, exec, s[6:7]
.LBB9_311:
	s_or_b64 exec, exec, s[2:3]
	s_mov_b64 s[2:3], 0
	global_store_byte v[4:5], v6, off
.LBB9_312:
	s_and_b64 vcc, exec, s[2:3]
	s_cbranch_vccz .LBB9_322
; %bb.313:
	v_cvt_f32_f64_e32 v2, v[0:1]
	v_and_b32_e32 v6, 0x7fffffff, v2
	s_mov_b32 s2, 0x43f00000
	v_cmp_gt_u32_e32 vcc, s2, v6
                                        ; implicit-def: $vgpr3
	s_and_saveexec_b64 s[2:3], vcc
	s_xor_b64 s[2:3], exec, s[2:3]
	s_cbranch_execz .LBB9_319
; %bb.314:
	s_mov_b32 s4, 0x3c7fffff
	v_cmp_lt_u32_e32 vcc, s4, v6
                                        ; implicit-def: $vgpr3
	s_and_saveexec_b64 s[4:5], vcc
	s_xor_b64 s[4:5], exec, s[4:5]
; %bb.315:
	v_bfe_u32 v3, v2, 20, 1
	s_mov_b32 s6, 0x407ffff
	v_add3_u32 v3, v2, v3, s6
	v_lshrrev_b32_e32 v6, 20, v3
	v_and_b32_e32 v3, 0xff00000, v3
	s_mov_b32 s6, 0x7f00000
	v_mov_b32_e32 v7, 0x7e
	v_cmp_ne_u32_e32 vcc, s6, v3
	s_nop 1
	v_cndmask_b32_e32 v3, v7, v6, vcc
; %bb.316:
	s_andn2_saveexec_b64 s[4:5], s[4:5]
; %bb.317:
	s_mov_b32 s6, 0x46800000
	v_add_f32_e64 v3, |v2|, s6
; %bb.318:
	s_or_b64 exec, exec, s[4:5]
                                        ; implicit-def: $vgpr6
.LBB9_319:
	s_andn2_saveexec_b64 s[2:3], s[2:3]
; %bb.320:
	s_mov_b32 s4, 0x7f800000
	v_mov_b32_e32 v3, 0x7e
	v_mov_b32_e32 v7, 0x7f
	v_cmp_lt_u32_e32 vcc, s4, v6
	s_nop 1
	v_cndmask_b32_e32 v3, v3, v7, vcc
; %bb.321:
	s_or_b64 exec, exec, s[2:3]
	v_lshrrev_b32_e32 v2, 24, v2
	s_movk_i32 s2, 0x80
	v_and_or_b32 v2, v2, s2, v3
	global_store_byte v[4:5], v2, off
.LBB9_322:
	s_mov_b64 s[2:3], 0
.LBB9_323:
	s_andn2_b64 vcc, exec, s[2:3]
	s_cbranch_vccnz .LBB9_333
; %bb.324:
	v_cvt_f32_f64_e32 v2, v[0:1]
	v_and_b32_e32 v6, 0x7fffffff, v2
	s_mov_b32 s2, 0x47800000
	v_cmp_gt_u32_e32 vcc, s2, v6
                                        ; implicit-def: $vgpr3
	s_and_saveexec_b64 s[2:3], vcc
	s_xor_b64 s[2:3], exec, s[2:3]
	s_cbranch_execz .LBB9_330
; %bb.325:
	s_mov_b32 s4, 0x387fffff
	v_cmp_lt_u32_e32 vcc, s4, v6
                                        ; implicit-def: $vgpr3
	s_and_saveexec_b64 s[4:5], vcc
	s_xor_b64 s[4:5], exec, s[4:5]
; %bb.326:
	v_bfe_u32 v3, v2, 21, 1
	s_mov_b32 s6, 0x80fffff
	v_add3_u32 v3, v2, v3, s6
	v_lshrrev_b32_e32 v3, 21, v3
; %bb.327:
	s_andn2_saveexec_b64 s[4:5], s[4:5]
; %bb.328:
	s_mov_b32 s6, 0x43000000
	v_add_f32_e64 v3, |v2|, s6
; %bb.329:
	s_or_b64 exec, exec, s[4:5]
                                        ; implicit-def: $vgpr6
.LBB9_330:
	s_andn2_saveexec_b64 s[2:3], s[2:3]
; %bb.331:
	s_mov_b32 s4, 0x7f800000
	v_mov_b32_e32 v3, 0x7c
	v_mov_b32_e32 v7, 0x7f
	v_cmp_lt_u32_e32 vcc, s4, v6
	s_nop 1
	v_cndmask_b32_e32 v3, v3, v7, vcc
; %bb.332:
	s_or_b64 exec, exec, s[2:3]
	v_lshrrev_b32_e32 v2, 24, v2
	s_movk_i32 s2, 0x80
	v_and_or_b32 v2, v2, s2, v3
	global_store_byte v[4:5], v2, off
.LBB9_333:
	s_mov_b64 s[4:5], 0
	s_mov_b64 s[2:3], -1
.LBB9_334:
	s_andn2_b64 vcc, exec, s[4:5]
	s_cbranch_vccnz .LBB9_342
; %bb.335:
	s_cmp_gt_i32 s9, 14
	s_mov_b64 s[4:5], -1
	s_cbranch_scc0 .LBB9_339
; %bb.336:
	s_cmp_eq_u32 s9, 15
	s_mov_b64 s[0:1], -1
	s_cbranch_scc0 .LBB9_338
; %bb.337:
	v_cvt_f32_f64_e32 v2, v[0:1]
	v_bfe_u32 v3, v2, 16, 1
	s_movk_i32 s0, 0x7fff
	v_add3_u32 v3, v2, v3, s0
	v_cmp_o_f32_e32 vcc, v2, v2
	v_mov_b32_e32 v2, 0x7fc0
	s_mov_b64 s[2:3], -1
	v_cndmask_b32_sdwa v2, v2, v3, vcc dst_sel:DWORD dst_unused:UNUSED_PAD src0_sel:DWORD src1_sel:WORD_1
	global_store_short v[4:5], v2, off
	s_mov_b64 s[0:1], 0
.LBB9_338:
	s_mov_b64 s[4:5], 0
.LBB9_339:
	s_and_b64 vcc, exec, s[4:5]
	s_cbranch_vccz .LBB9_342
; %bb.340:
	s_cmp_eq_u32 s9, 11
	s_mov_b64 s[0:1], -1
	s_cbranch_scc0 .LBB9_342
; %bb.341:
	v_cmp_neq_f64_e32 vcc, 0, v[0:1]
	s_mov_b64 s[0:1], 0
	s_mov_b64 s[2:3], -1
	v_cndmask_b32_e64 v2, 0, 1, vcc
	global_store_byte v[4:5], v2, off
.LBB9_342:
	s_mov_b64 s[4:5], 0
.LBB9_343:
	s_and_b64 vcc, exec, s[4:5]
	s_cbranch_vccz .LBB9_382
; %bb.344:
	s_and_b32 s4, 0xffff, s8
	s_cmp_lt_i32 s4, 5
	s_mov_b64 s[2:3], -1
	s_cbranch_scc1 .LBB9_365
; %bb.345:
	s_cmp_lt_i32 s4, 8
	s_cbranch_scc1 .LBB9_355
; %bb.346:
	s_cmp_lt_i32 s4, 9
	s_cbranch_scc1 .LBB9_352
; %bb.347:
	s_cmp_gt_i32 s4, 9
	s_cbranch_scc0 .LBB9_349
; %bb.348:
	v_mov_b32_e32 v2, 0
	v_mov_b32_e32 v3, v2
	s_mov_b64 s[2:3], 0
	global_store_dwordx4 v[4:5], v[0:3], off
.LBB9_349:
	s_andn2_b64 vcc, exec, s[2:3]
	s_cbranch_vccnz .LBB9_351
; %bb.350:
	v_cvt_f32_f64_e32 v2, v[0:1]
	v_mov_b32_e32 v3, 0
	global_store_dwordx2 v[4:5], v[2:3], off
.LBB9_351:
	s_mov_b64 s[2:3], 0
.LBB9_352:
	s_andn2_b64 vcc, exec, s[2:3]
	s_cbranch_vccnz .LBB9_354
; %bb.353:
	s_movk_i32 s2, 0x1ff
	v_and_or_b32 v2, v1, s2, v0
	v_cmp_ne_u32_e32 vcc, 0, v2
	v_lshrrev_b32_e32 v3, 8, v1
	s_movk_i32 s2, 0xffe
	v_cndmask_b32_e64 v2, 0, 1, vcc
	v_bfe_u32 v6, v1, 20, 11
	v_and_or_b32 v2, v3, s2, v2
	v_sub_u32_e32 v7, 0x3f1, v6
	v_or_b32_e32 v3, 0x1000, v2
	v_med3_i32 v7, v7, 0, 13
	v_lshrrev_b32_e32 v8, v7, v3
	v_lshlrev_b32_e32 v7, v7, v8
	v_cmp_ne_u32_e32 vcc, v7, v3
	v_add_u32_e32 v6, 0xfffffc10, v6
	v_lshl_or_b32 v7, v6, 12, v2
	v_cndmask_b32_e64 v3, 0, 1, vcc
	v_or_b32_e32 v3, v8, v3
	v_cmp_gt_i32_e32 vcc, 1, v6
	s_movk_i32 s2, 0x40f
	s_nop 0
	v_cndmask_b32_e32 v3, v7, v3, vcc
	v_and_b32_e32 v7, 7, v3
	v_cmp_lt_i32_e32 vcc, 5, v7
	v_lshrrev_b32_e32 v3, 2, v3
	s_nop 0
	v_cndmask_b32_e64 v8, 0, 1, vcc
	v_cmp_eq_u32_e32 vcc, 3, v7
	s_nop 1
	v_cndmask_b32_e64 v7, 0, 1, vcc
	v_or_b32_e32 v7, v7, v8
	v_add_u32_e32 v3, v3, v7
	v_mov_b32_e32 v7, 0x7c00
	v_cmp_gt_i32_e32 vcc, 31, v6
	v_mov_b32_e32 v8, 0x7e00
	s_nop 0
	v_cndmask_b32_e32 v3, v7, v3, vcc
	v_cmp_ne_u32_e32 vcc, 0, v2
	s_nop 1
	v_cndmask_b32_e32 v2, v7, v8, vcc
	v_cmp_eq_u32_e32 vcc, s2, v6
	s_mov_b32 s2, 0x8000
	s_nop 0
	v_cndmask_b32_e32 v2, v3, v2, vcc
	v_and_b32_sdwa v3, v1, s2 dst_sel:DWORD dst_unused:UNUSED_PAD src0_sel:WORD_1 src1_sel:DWORD
	s_mov_b32 s2, 0xffff
	v_bitop3_b32 v2, v3, s2, v2 bitop3:0xc8
	global_store_dword v[4:5], v2, off
.LBB9_354:
	s_mov_b64 s[2:3], 0
.LBB9_355:
	s_andn2_b64 vcc, exec, s[2:3]
	s_cbranch_vccnz .LBB9_364
; %bb.356:
	s_cmp_lt_i32 s4, 6
	s_mov_b64 s[2:3], -1
	s_cbranch_scc1 .LBB9_362
; %bb.357:
	s_cmp_gt_i32 s4, 6
	s_cbranch_scc0 .LBB9_359
; %bb.358:
	s_mov_b64 s[2:3], 0
	global_store_dwordx2 v[4:5], v[0:1], off
.LBB9_359:
	s_andn2_b64 vcc, exec, s[2:3]
	s_cbranch_vccnz .LBB9_361
; %bb.360:
	v_cvt_f32_f64_e32 v2, v[0:1]
	global_store_dword v[4:5], v2, off
.LBB9_361:
	s_mov_b64 s[2:3], 0
.LBB9_362:
	s_andn2_b64 vcc, exec, s[2:3]
	s_cbranch_vccnz .LBB9_364
; %bb.363:
	s_movk_i32 s2, 0x1ff
	v_and_or_b32 v2, v1, s2, v0
	v_cmp_ne_u32_e32 vcc, 0, v2
	v_lshrrev_b32_e32 v3, 8, v1
	s_movk_i32 s2, 0xffe
	v_cndmask_b32_e64 v2, 0, 1, vcc
	v_bfe_u32 v6, v1, 20, 11
	v_and_or_b32 v2, v3, s2, v2
	v_sub_u32_e32 v7, 0x3f1, v6
	v_or_b32_e32 v3, 0x1000, v2
	v_med3_i32 v7, v7, 0, 13
	v_lshrrev_b32_e32 v8, v7, v3
	v_lshlrev_b32_e32 v7, v7, v8
	v_cmp_ne_u32_e32 vcc, v7, v3
	v_add_u32_e32 v6, 0xfffffc10, v6
	v_lshl_or_b32 v7, v6, 12, v2
	v_cndmask_b32_e64 v3, 0, 1, vcc
	v_or_b32_e32 v3, v8, v3
	v_cmp_gt_i32_e32 vcc, 1, v6
	s_movk_i32 s2, 0x40f
	s_nop 0
	v_cndmask_b32_e32 v3, v7, v3, vcc
	v_and_b32_e32 v7, 7, v3
	v_cmp_lt_i32_e32 vcc, 5, v7
	v_lshrrev_b32_e32 v3, 2, v3
	s_nop 0
	v_cndmask_b32_e64 v8, 0, 1, vcc
	v_cmp_eq_u32_e32 vcc, 3, v7
	s_nop 1
	v_cndmask_b32_e64 v7, 0, 1, vcc
	v_or_b32_e32 v7, v7, v8
	v_add_u32_e32 v3, v3, v7
	v_mov_b32_e32 v7, 0x7c00
	v_cmp_gt_i32_e32 vcc, 31, v6
	v_mov_b32_e32 v8, 0x7e00
	s_nop 0
	v_cndmask_b32_e32 v3, v7, v3, vcc
	v_cmp_ne_u32_e32 vcc, 0, v2
	s_nop 1
	v_cndmask_b32_e32 v2, v7, v8, vcc
	v_cmp_eq_u32_e32 vcc, s2, v6
	s_mov_b32 s2, 0x8000
	s_nop 0
	v_cndmask_b32_e32 v2, v3, v2, vcc
	v_lshrrev_b32_e32 v3, 16, v1
	v_and_or_b32 v2, v3, s2, v2
	global_store_short v[4:5], v2, off
.LBB9_364:
	s_mov_b64 s[2:3], 0
.LBB9_365:
	s_andn2_b64 vcc, exec, s[2:3]
	s_cbranch_vccnz .LBB9_381
; %bb.366:
	s_cmp_lt_i32 s4, 2
	s_mov_b64 s[2:3], -1
	s_cbranch_scc1 .LBB9_376
; %bb.367:
	s_cmp_lt_i32 s4, 3
	s_cbranch_scc1 .LBB9_373
; %bb.368:
	s_cmp_gt_i32 s4, 3
	s_cbranch_scc0 .LBB9_370
; %bb.369:
	v_trunc_f64_e32 v[2:3], v[0:1]
	s_movk_i32 s2, 0xffe0
	v_ldexp_f64 v[6:7], v[2:3], s2
	v_floor_f64_e32 v[6:7], v[6:7]
	v_fmac_f64_e32 v[2:3], 0xc1f00000, v[6:7]
	v_cvt_i32_f64_e32 v9, v[6:7]
	v_cvt_u32_f64_e32 v8, v[2:3]
	s_mov_b64 s[2:3], 0
	global_store_dwordx2 v[4:5], v[8:9], off
.LBB9_370:
	s_andn2_b64 vcc, exec, s[2:3]
	s_cbranch_vccnz .LBB9_372
; %bb.371:
	v_cvt_i32_f64_e32 v2, v[0:1]
	global_store_dword v[4:5], v2, off
.LBB9_372:
	s_mov_b64 s[2:3], 0
.LBB9_373:
	s_andn2_b64 vcc, exec, s[2:3]
	s_cbranch_vccnz .LBB9_375
; %bb.374:
	v_cvt_i32_f64_e32 v2, v[0:1]
	global_store_short v[4:5], v2, off
.LBB9_375:
	s_mov_b64 s[2:3], 0
.LBB9_376:
	s_andn2_b64 vcc, exec, s[2:3]
	s_cbranch_vccnz .LBB9_381
; %bb.377:
	s_cmp_gt_i32 s4, 0
	s_mov_b64 s[2:3], -1
	s_cbranch_scc0 .LBB9_379
; %bb.378:
	v_cvt_i32_f64_e32 v2, v[0:1]
	s_mov_b64 s[2:3], 0
	global_store_byte v[4:5], v2, off
.LBB9_379:
	s_andn2_b64 vcc, exec, s[2:3]
	s_cbranch_vccnz .LBB9_381
; %bb.380:
	v_trunc_f64_e32 v[0:1], v[0:1]
	s_movk_i32 s2, 0xffe0
	v_ldexp_f64 v[2:3], v[0:1], s2
	v_floor_f64_e32 v[2:3], v[2:3]
	v_fmac_f64_e32 v[0:1], 0xc1f00000, v[2:3]
	v_cvt_u32_f64_e32 v0, v[0:1]
	global_store_byte v[4:5], v0, off
.LBB9_381:
	s_mov_b64 s[2:3], -1
.LBB9_382:
	s_andn2_b64 vcc, exec, s[2:3]
	s_cbranch_vccnz .LBB9_384
; %bb.383:
	v_add_u32_e32 v42, 0x80, v42
	s_mov_b64 s[2:3], -1
	s_branch .LBB9_385
.LBB9_384:
	s_mov_b64 s[2:3], 0
                                        ; implicit-def: $vgpr42
.LBB9_385:
	s_andn2_b64 s[4:5], s[46:47], exec
	s_and_b64 s[0:1], s[0:1], exec
	s_or_b64 s[52:53], s[4:5], s[0:1]
	s_orn2_b64 s[2:3], s[2:3], exec
.LBB9_386:
	s_or_b64 exec, exec, s[50:51]
	s_mov_b64 s[0:1], 0
	s_mov_b64 s[6:7], 0
                                        ; implicit-def: $sgpr10
                                        ; implicit-def: $vgpr4_vgpr5
                                        ; implicit-def: $vgpr0_vgpr1
	s_and_saveexec_b64 s[50:51], s[2:3]
	s_cbranch_execz .LBB9_466
; %bb.387:
	v_cmp_gt_i32_e32 vcc, s54, v42
	s_mov_b64 s[2:3], 0
	s_mov_b64 s[4:5], s[52:53]
                                        ; implicit-def: $sgpr10
                                        ; implicit-def: $vgpr4_vgpr5
                                        ; implicit-def: $vgpr0_vgpr1
	s_and_saveexec_b64 s[54:55], vcc
	s_cbranch_execz .LBB9_465
; %bb.388:
	s_getpc_b64 s[0:1]
	s_add_u32 s0, s0, _ZN2at6native6invokeIZZZNS0_12_GLOBAL__N_121bessel_y1_kernel_cudaERNS_18TensorIteratorBaseEENKUlvE_clEvENKUlvE_clEvEUldE_i15function_traitsIS7_EEENT1_11result_typeERKT_PrKPcPKT0_PKN3c1010ScalarTypeEi@rel32@lo+4
	s_addc_u32 s1, s1, _ZN2at6native6invokeIZZZNS0_12_GLOBAL__N_121bessel_y1_kernel_cudaERNS_18TensorIteratorBaseEENKUlvE_clEvENKUlvE_clEvEUldE_i15function_traitsIS7_EEENT1_11result_typeERKT_PrKPcPKT0_PKN3c1010ScalarTypeEi@rel32@hi+12
	v_mov_b32_e32 v0, s38
	v_mov_b32_e32 v1, s39
	;; [unrolled: 1-line block ×5, first 2 shown]
	s_swappc_b64 s[30:31], s[0:1]
	v_mul_lo_u32 v2, v42, s28
	v_ashrrev_i32_e32 v3, 31, v2
	s_and_b32 s10, s33, 0xff
	s_cmp_lt_i32 s10, 11
	v_lshl_add_u64 v[4:5], s[36:37], 0, v[2:3]
	s_cbranch_scc1 .LBB9_462
; %bb.389:
	s_and_b32 s11, 0xffff, s10
	s_mov_b64 s[4:5], -1
	s_cmp_gt_i32 s11, 25
	s_mov_b64 s[0:1], s[52:53]
	s_cbranch_scc0 .LBB9_422
; %bb.390:
	s_mov_b64 s[2:3], -1
	s_cmp_gt_i32 s11, 28
	s_mov_b64 s[0:1], s[52:53]
	s_cbranch_scc0 .LBB9_406
; %bb.391:
	s_cmp_gt_i32 s11, 43
	s_mov_b64 s[0:1], s[52:53]
	s_cbranch_scc0 .LBB9_402
; %bb.392:
	;; [unrolled: 4-line block ×3, first 2 shown]
	s_cmp_eq_u32 s11, 46
	s_mov_b64 s[0:1], -1
	s_cbranch_scc0 .LBB9_395
; %bb.394:
	v_cvt_f32_f64_e32 v2, v[0:1]
	v_bfe_u32 v3, v2, 16, 1
	s_movk_i32 s0, 0x7fff
	v_add3_u32 v3, v2, v3, s0
	v_cmp_o_f32_e32 vcc, v2, v2
	v_mov_b32_e32 v2, 0x7fc0
	s_mov_b64 s[0:1], 0
	v_cndmask_b32_sdwa v2, v2, v3, vcc dst_sel:DWORD dst_unused:UNUSED_PAD src0_sel:DWORD src1_sel:WORD_1
	global_store_dword v[4:5], v2, off
.LBB9_395:
	s_mov_b64 s[2:3], 0
.LBB9_396:
	s_and_b64 vcc, exec, s[2:3]
	s_cbranch_vccz .LBB9_401
; %bb.397:
	s_cmp_eq_u32 s11, 44
	s_mov_b64 s[0:1], -1
	s_cbranch_scc0 .LBB9_401
; %bb.398:
	v_cvt_f32_f64_e32 v2, v[0:1]
	v_bfe_u32 v3, v2, 23, 8
	s_movk_i32 s0, 0xff
	v_cmp_ne_u32_e32 vcc, s0, v3
	v_mov_b32_e32 v6, 0xff
	s_and_saveexec_b64 s[2:3], vcc
; %bb.399:
	s_mov_b32 s0, 0x3fffff
	v_lshrrev_b32_e32 v6, 23, v2
	v_and_b32_e32 v7, 0x400000, v2
	v_and_or_b32 v2, v2, s0, v3
	v_cmp_ne_u32_e32 vcc, 0, v7
	v_cmp_ne_u32_e64 s[0:1], 0, v2
	s_and_b64 s[0:1], vcc, s[0:1]
	s_nop 0
	v_cndmask_b32_e64 v2, 0, 1, s[0:1]
	v_add_u32_e32 v6, v6, v2
; %bb.400:
	s_or_b64 exec, exec, s[2:3]
	s_mov_b64 s[0:1], 0
	global_store_byte v[4:5], v6, off
.LBB9_401:
	s_mov_b64 s[2:3], 0
.LBB9_402:
	s_and_b64 vcc, exec, s[2:3]
	s_cbranch_vccz .LBB9_405
; %bb.403:
	s_cmp_eq_u32 s11, 29
	s_mov_b64 s[0:1], -1
	s_cbranch_scc0 .LBB9_405
; %bb.404:
	v_trunc_f64_e32 v[2:3], v[0:1]
	s_movk_i32 s0, 0xffe0
	v_ldexp_f64 v[6:7], v[2:3], s0
	v_floor_f64_e32 v[6:7], v[6:7]
	v_fmac_f64_e32 v[2:3], 0xc1f00000, v[6:7]
	v_cvt_u32_f64_e32 v9, v[6:7]
	v_cvt_u32_f64_e32 v8, v[2:3]
	global_store_dwordx2 v[4:5], v[8:9], off
	s_mov_b64 s[0:1], 0
.LBB9_405:
	s_mov_b64 s[2:3], 0
.LBB9_406:
	s_and_b64 vcc, exec, s[2:3]
	s_cbranch_vccz .LBB9_421
; %bb.407:
	s_cmp_lt_i32 s11, 27
	s_mov_b64 s[2:3], -1
	s_cbranch_scc1 .LBB9_413
; %bb.408:
	s_cmp_gt_i32 s11, 27
	v_cvt_u32_f64_e32 v2, v[0:1]
	s_cbranch_scc0 .LBB9_410
; %bb.409:
	s_mov_b64 s[2:3], 0
	global_store_dword v[4:5], v2, off
.LBB9_410:
	s_andn2_b64 vcc, exec, s[2:3]
	s_cbranch_vccnz .LBB9_412
; %bb.411:
	global_store_short v[4:5], v2, off
.LBB9_412:
	s_mov_b64 s[2:3], 0
.LBB9_413:
	s_andn2_b64 vcc, exec, s[2:3]
	s_cbranch_vccnz .LBB9_421
; %bb.414:
	v_cvt_f32_f64_e32 v2, v[0:1]
	v_and_b32_e32 v3, 0x7fffffff, v2
	s_mov_b32 s2, 0x43800000
	v_cmp_gt_u32_e32 vcc, s2, v3
	v_mov_b32_e32 v6, 0x80
	s_and_saveexec_b64 s[2:3], vcc
	s_cbranch_execz .LBB9_420
; %bb.415:
	s_mov_b32 s4, 0x3bffffff
	v_cmp_lt_u32_e32 vcc, s4, v3
	s_mov_b64 s[4:5], 0
                                        ; implicit-def: $vgpr3
	s_and_saveexec_b64 s[6:7], vcc
	s_xor_b64 s[6:7], exec, s[6:7]
	s_cbranch_execz .LBB9_1007
; %bb.416:
	v_bfe_u32 v3, v2, 20, 1
	s_mov_b32 s8, 0x487ffff
	v_add3_u32 v3, v2, v3, s8
	s_mov_b64 s[4:5], exec
	v_lshrrev_b32_e32 v3, 20, v3
	s_andn2_saveexec_b64 s[6:7], s[6:7]
	s_cbranch_execnz .LBB9_1008
.LBB9_417:
	s_or_b64 exec, exec, s[6:7]
	v_mov_b32_e32 v6, 0
	s_and_saveexec_b64 s[6:7], s[4:5]
.LBB9_418:
	v_lshrrev_b32_e32 v2, 24, v2
	s_movk_i32 s4, 0x80
	v_and_or_b32 v6, v2, s4, v3
.LBB9_419:
	s_or_b64 exec, exec, s[6:7]
.LBB9_420:
	s_or_b64 exec, exec, s[2:3]
	global_store_byte v[4:5], v6, off
.LBB9_421:
	s_mov_b64 s[4:5], 0
.LBB9_422:
	s_mov_b64 s[2:3], 0
	s_and_b64 vcc, exec, s[4:5]
	s_cbranch_vccz .LBB9_463
; %bb.423:
	s_cmp_gt_i32 s11, 22
	s_mov_b64 s[4:5], -1
	s_cbranch_scc0 .LBB9_455
; %bb.424:
	s_cmp_lt_i32 s11, 24
	s_cbranch_scc1 .LBB9_444
; %bb.425:
	s_cmp_gt_i32 s11, 24
	s_cbranch_scc0 .LBB9_433
; %bb.426:
	v_cvt_f32_f64_e32 v2, v[0:1]
	v_and_b32_e32 v3, 0x7fffffff, v2
	s_mov_b32 s4, 0x47800000
	v_cmp_gt_u32_e32 vcc, s4, v3
	v_mov_b32_e32 v6, 0x80
	s_and_saveexec_b64 s[4:5], vcc
	s_cbranch_execz .LBB9_432
; %bb.427:
	s_mov_b32 s6, 0x37ffffff
	v_cmp_lt_u32_e32 vcc, s6, v3
	s_mov_b64 s[6:7], 0
                                        ; implicit-def: $vgpr3
	s_and_saveexec_b64 s[8:9], vcc
	s_xor_b64 s[8:9], exec, s[8:9]
	s_cbranch_execz .LBB9_1011
; %bb.428:
	v_bfe_u32 v3, v2, 21, 1
	s_mov_b32 s12, 0x88fffff
	v_add3_u32 v3, v2, v3, s12
	s_mov_b64 s[6:7], exec
	v_lshrrev_b32_e32 v3, 21, v3
	s_andn2_saveexec_b64 s[8:9], s[8:9]
	s_cbranch_execnz .LBB9_1012
.LBB9_429:
	s_or_b64 exec, exec, s[8:9]
	v_mov_b32_e32 v6, 0
	s_and_saveexec_b64 s[8:9], s[6:7]
.LBB9_430:
	v_lshrrev_b32_e32 v2, 24, v2
	s_movk_i32 s6, 0x80
	v_and_or_b32 v6, v2, s6, v3
.LBB9_431:
	s_or_b64 exec, exec, s[8:9]
.LBB9_432:
	s_or_b64 exec, exec, s[4:5]
	s_mov_b64 s[4:5], 0
	global_store_byte v[4:5], v6, off
.LBB9_433:
	s_and_b64 vcc, exec, s[4:5]
	s_cbranch_vccz .LBB9_443
; %bb.434:
	v_cvt_f32_f64_e32 v2, v[0:1]
	v_and_b32_e32 v6, 0x7fffffff, v2
	s_mov_b32 s4, 0x43f00000
	v_cmp_gt_u32_e32 vcc, s4, v6
                                        ; implicit-def: $vgpr3
	s_and_saveexec_b64 s[4:5], vcc
	s_xor_b64 s[4:5], exec, s[4:5]
	s_cbranch_execz .LBB9_440
; %bb.435:
	s_mov_b32 s6, 0x3c7fffff
	v_cmp_lt_u32_e32 vcc, s6, v6
                                        ; implicit-def: $vgpr3
	s_and_saveexec_b64 s[6:7], vcc
	s_xor_b64 s[6:7], exec, s[6:7]
; %bb.436:
	v_bfe_u32 v3, v2, 20, 1
	s_mov_b32 s8, 0x407ffff
	v_add3_u32 v3, v2, v3, s8
	v_lshrrev_b32_e32 v6, 20, v3
	v_and_b32_e32 v3, 0xff00000, v3
	s_mov_b32 s8, 0x7f00000
	v_mov_b32_e32 v7, 0x7e
	v_cmp_ne_u32_e32 vcc, s8, v3
	s_nop 1
	v_cndmask_b32_e32 v3, v7, v6, vcc
; %bb.437:
	s_andn2_saveexec_b64 s[6:7], s[6:7]
; %bb.438:
	s_mov_b32 s8, 0x46800000
	v_add_f32_e64 v3, |v2|, s8
; %bb.439:
	s_or_b64 exec, exec, s[6:7]
                                        ; implicit-def: $vgpr6
.LBB9_440:
	s_andn2_saveexec_b64 s[4:5], s[4:5]
; %bb.441:
	s_mov_b32 s6, 0x7f800000
	v_mov_b32_e32 v3, 0x7e
	v_mov_b32_e32 v7, 0x7f
	v_cmp_lt_u32_e32 vcc, s6, v6
	s_nop 1
	v_cndmask_b32_e32 v3, v3, v7, vcc
; %bb.442:
	s_or_b64 exec, exec, s[4:5]
	v_lshrrev_b32_e32 v2, 24, v2
	s_movk_i32 s4, 0x80
	v_and_or_b32 v2, v2, s4, v3
	global_store_byte v[4:5], v2, off
.LBB9_443:
	s_mov_b64 s[4:5], 0
.LBB9_444:
	s_andn2_b64 vcc, exec, s[4:5]
	s_cbranch_vccnz .LBB9_454
; %bb.445:
	v_cvt_f32_f64_e32 v2, v[0:1]
	v_and_b32_e32 v6, 0x7fffffff, v2
	s_mov_b32 s4, 0x47800000
	v_cmp_gt_u32_e32 vcc, s4, v6
                                        ; implicit-def: $vgpr3
	s_and_saveexec_b64 s[4:5], vcc
	s_xor_b64 s[4:5], exec, s[4:5]
	s_cbranch_execz .LBB9_451
; %bb.446:
	s_mov_b32 s6, 0x387fffff
	v_cmp_lt_u32_e32 vcc, s6, v6
                                        ; implicit-def: $vgpr3
	s_and_saveexec_b64 s[6:7], vcc
	s_xor_b64 s[6:7], exec, s[6:7]
; %bb.447:
	v_bfe_u32 v3, v2, 21, 1
	s_mov_b32 s8, 0x80fffff
	v_add3_u32 v3, v2, v3, s8
	v_lshrrev_b32_e32 v3, 21, v3
; %bb.448:
	s_andn2_saveexec_b64 s[6:7], s[6:7]
; %bb.449:
	s_mov_b32 s8, 0x43000000
	v_add_f32_e64 v3, |v2|, s8
; %bb.450:
	s_or_b64 exec, exec, s[6:7]
                                        ; implicit-def: $vgpr6
.LBB9_451:
	s_andn2_saveexec_b64 s[4:5], s[4:5]
; %bb.452:
	s_mov_b32 s6, 0x7f800000
	v_mov_b32_e32 v3, 0x7c
	v_mov_b32_e32 v7, 0x7f
	v_cmp_lt_u32_e32 vcc, s6, v6
	s_nop 1
	v_cndmask_b32_e32 v3, v3, v7, vcc
; %bb.453:
	s_or_b64 exec, exec, s[4:5]
	v_lshrrev_b32_e32 v2, 24, v2
	s_movk_i32 s4, 0x80
	v_and_or_b32 v2, v2, s4, v3
	global_store_byte v[4:5], v2, off
.LBB9_454:
	s_mov_b64 s[4:5], 0
.LBB9_455:
	s_andn2_b64 vcc, exec, s[4:5]
	s_mov_b64 s[4:5], 0
	s_cbranch_vccnz .LBB9_464
; %bb.456:
	s_cmp_gt_i32 s11, 14
	s_mov_b64 s[6:7], -1
	s_cbranch_scc0 .LBB9_460
; %bb.457:
	s_cmp_eq_u32 s11, 15
	s_mov_b64 s[0:1], -1
	s_cbranch_scc0 .LBB9_459
; %bb.458:
	v_cvt_f32_f64_e32 v2, v[0:1]
	v_bfe_u32 v3, v2, 16, 1
	s_movk_i32 s0, 0x7fff
	v_add3_u32 v3, v2, v3, s0
	v_cmp_o_f32_e32 vcc, v2, v2
	v_mov_b32_e32 v2, 0x7fc0
	s_mov_b64 s[0:1], 0
	v_cndmask_b32_sdwa v2, v2, v3, vcc dst_sel:DWORD dst_unused:UNUSED_PAD src0_sel:DWORD src1_sel:WORD_1
	global_store_short v[4:5], v2, off
.LBB9_459:
	s_mov_b64 s[6:7], 0
.LBB9_460:
	s_and_b64 vcc, exec, s[6:7]
	s_cbranch_vccz .LBB9_464
; %bb.461:
	s_cmp_lg_u32 s11, 11
	s_cselect_b64 s[6:7], -1, 0
	s_andn2_b64 s[0:1], s[0:1], exec
	s_and_b64 s[6:7], s[6:7], exec
	s_mov_b64 s[4:5], -1
	s_or_b64 s[0:1], s[0:1], s[6:7]
	s_branch .LBB9_464
.LBB9_462:
	s_mov_b64 s[4:5], 0
	s_mov_b64 s[2:3], -1
	s_mov_b64 s[0:1], s[52:53]
	s_branch .LBB9_464
.LBB9_463:
	s_mov_b64 s[4:5], 0
.LBB9_464:
	s_and_b64 s[6:7], s[2:3], exec
	s_and_b64 s[2:3], s[4:5], exec
	s_andn2_b64 s[4:5], s[52:53], exec
	s_and_b64 s[0:1], s[0:1], exec
	s_or_b64 s[4:5], s[4:5], s[0:1]
.LBB9_465:
	s_or_b64 exec, exec, s[54:55]
	s_and_b64 s[0:1], s[2:3], exec
	s_andn2_b64 s[2:3], s[52:53], exec
	s_and_b64 s[4:5], s[4:5], exec
	s_and_b64 s[6:7], s[6:7], exec
	s_or_b64 s[52:53], s[2:3], s[4:5]
.LBB9_466:
	s_or_b64 exec, exec, s[50:51]
	s_and_b64 s[2:3], s[6:7], exec
	s_andn2_b64 s[4:5], s[46:47], exec
	s_and_b64 s[6:7], s[52:53], exec
	s_and_b64 s[0:1], s[0:1], exec
	s_or_b64 s[46:47], s[4:5], s[6:7]
.LBB9_467:
	s_or_b64 exec, exec, s[48:49]
	s_and_b64 s[48:49], s[0:1], exec
	s_andn2_b64 s[0:1], s[42:43], exec
	s_and_b64 s[4:5], s[46:47], exec
	s_and_b64 s[2:3], s[2:3], exec
	s_or_b64 s[42:43], s[0:1], s[4:5]
	s_or_b64 exec, exec, s[44:45]
	s_mov_b64 s[0:1], 0
	s_and_saveexec_b64 s[4:5], s[42:43]
	s_cbranch_execz .LBB9_134
.LBB9_468:
	s_mov_b64 s[0:1], exec
	s_andn2_b64 s[48:49], s[48:49], exec
	s_trap 2
	s_or_b64 exec, exec, s[4:5]
	s_and_saveexec_b64 s[4:5], s[48:49]
	s_xor_b64 s[4:5], exec, s[4:5]
	s_cbranch_execnz .LBB9_135
.LBB9_469:
	s_or_b64 exec, exec, s[4:5]
	s_and_saveexec_b64 s[4:5], s[2:3]
	s_xor_b64 s[2:3], exec, s[4:5]
	s_cbranch_execz .LBB9_507
.LBB9_470:
	s_sext_i32_i16 s6, s10
	s_cmp_lt_i32 s6, 5
	s_mov_b64 s[4:5], -1
	s_cbranch_scc1 .LBB9_491
; %bb.471:
	s_cmp_lt_i32 s6, 8
	s_cbranch_scc1 .LBB9_481
; %bb.472:
	s_cmp_lt_i32 s6, 9
	s_cbranch_scc1 .LBB9_478
; %bb.473:
	s_cmp_gt_i32 s6, 9
	s_cbranch_scc0 .LBB9_475
; %bb.474:
	v_mov_b32_e32 v2, 0
	v_mov_b32_e32 v3, v2
	s_mov_b64 s[4:5], 0
	global_store_dwordx4 v[4:5], v[0:3], off
.LBB9_475:
	s_andn2_b64 vcc, exec, s[4:5]
	s_cbranch_vccnz .LBB9_477
; %bb.476:
	v_cvt_f32_f64_e32 v2, v[0:1]
	v_mov_b32_e32 v3, 0
	global_store_dwordx2 v[4:5], v[2:3], off
.LBB9_477:
	s_mov_b64 s[4:5], 0
.LBB9_478:
	s_andn2_b64 vcc, exec, s[4:5]
	s_cbranch_vccnz .LBB9_480
; %bb.479:
	s_movk_i32 s4, 0x1ff
	v_and_or_b32 v2, v1, s4, v0
	v_cmp_ne_u32_e32 vcc, 0, v2
	v_lshrrev_b32_e32 v3, 8, v1
	s_movk_i32 s4, 0xffe
	v_cndmask_b32_e64 v2, 0, 1, vcc
	v_bfe_u32 v6, v1, 20, 11
	v_and_or_b32 v2, v3, s4, v2
	v_sub_u32_e32 v7, 0x3f1, v6
	v_or_b32_e32 v3, 0x1000, v2
	v_med3_i32 v7, v7, 0, 13
	v_lshrrev_b32_e32 v8, v7, v3
	v_lshlrev_b32_e32 v7, v7, v8
	v_cmp_ne_u32_e32 vcc, v7, v3
	v_add_u32_e32 v6, 0xfffffc10, v6
	v_lshl_or_b32 v7, v6, 12, v2
	v_cndmask_b32_e64 v3, 0, 1, vcc
	v_or_b32_e32 v3, v8, v3
	v_cmp_gt_i32_e32 vcc, 1, v6
	s_movk_i32 s4, 0x40f
	s_nop 0
	v_cndmask_b32_e32 v3, v7, v3, vcc
	v_and_b32_e32 v7, 7, v3
	v_cmp_lt_i32_e32 vcc, 5, v7
	v_lshrrev_b32_e32 v3, 2, v3
	s_nop 0
	v_cndmask_b32_e64 v8, 0, 1, vcc
	v_cmp_eq_u32_e32 vcc, 3, v7
	s_nop 1
	v_cndmask_b32_e64 v7, 0, 1, vcc
	v_or_b32_e32 v7, v7, v8
	v_add_u32_e32 v3, v3, v7
	v_mov_b32_e32 v7, 0x7c00
	v_cmp_gt_i32_e32 vcc, 31, v6
	v_mov_b32_e32 v8, 0x7e00
	s_nop 0
	v_cndmask_b32_e32 v3, v7, v3, vcc
	v_cmp_ne_u32_e32 vcc, 0, v2
	s_nop 1
	v_cndmask_b32_e32 v2, v7, v8, vcc
	v_cmp_eq_u32_e32 vcc, s4, v6
	s_mov_b32 s4, 0x8000
	s_nop 0
	v_cndmask_b32_e32 v2, v3, v2, vcc
	v_and_b32_sdwa v3, v1, s4 dst_sel:DWORD dst_unused:UNUSED_PAD src0_sel:WORD_1 src1_sel:DWORD
	s_mov_b32 s4, 0xffff
	v_bitop3_b32 v2, v3, s4, v2 bitop3:0xc8
	global_store_dword v[4:5], v2, off
.LBB9_480:
	s_mov_b64 s[4:5], 0
.LBB9_481:
	s_andn2_b64 vcc, exec, s[4:5]
	s_cbranch_vccnz .LBB9_490
; %bb.482:
	s_sext_i32_i16 s6, s10
	s_cmp_lt_i32 s6, 6
	s_mov_b64 s[4:5], -1
	s_cbranch_scc1 .LBB9_488
; %bb.483:
	s_cmp_gt_i32 s6, 6
	s_cbranch_scc0 .LBB9_485
; %bb.484:
	s_mov_b64 s[4:5], 0
	global_store_dwordx2 v[4:5], v[0:1], off
.LBB9_485:
	s_andn2_b64 vcc, exec, s[4:5]
	s_cbranch_vccnz .LBB9_487
; %bb.486:
	v_cvt_f32_f64_e32 v2, v[0:1]
	global_store_dword v[4:5], v2, off
.LBB9_487:
	s_mov_b64 s[4:5], 0
.LBB9_488:
	s_andn2_b64 vcc, exec, s[4:5]
	s_cbranch_vccnz .LBB9_490
; %bb.489:
	s_movk_i32 s4, 0x1ff
	v_and_or_b32 v2, v1, s4, v0
	v_cmp_ne_u32_e32 vcc, 0, v2
	v_lshrrev_b32_e32 v3, 8, v1
	s_movk_i32 s4, 0xffe
	v_cndmask_b32_e64 v2, 0, 1, vcc
	v_bfe_u32 v6, v1, 20, 11
	v_and_or_b32 v2, v3, s4, v2
	v_sub_u32_e32 v7, 0x3f1, v6
	v_or_b32_e32 v3, 0x1000, v2
	v_med3_i32 v7, v7, 0, 13
	v_lshrrev_b32_e32 v8, v7, v3
	v_lshlrev_b32_e32 v7, v7, v8
	v_cmp_ne_u32_e32 vcc, v7, v3
	v_add_u32_e32 v6, 0xfffffc10, v6
	v_lshl_or_b32 v7, v6, 12, v2
	v_cndmask_b32_e64 v3, 0, 1, vcc
	v_or_b32_e32 v3, v8, v3
	v_cmp_gt_i32_e32 vcc, 1, v6
	s_movk_i32 s4, 0x40f
	s_nop 0
	v_cndmask_b32_e32 v3, v7, v3, vcc
	v_and_b32_e32 v7, 7, v3
	v_cmp_lt_i32_e32 vcc, 5, v7
	v_lshrrev_b32_e32 v3, 2, v3
	s_nop 0
	v_cndmask_b32_e64 v8, 0, 1, vcc
	v_cmp_eq_u32_e32 vcc, 3, v7
	s_nop 1
	v_cndmask_b32_e64 v7, 0, 1, vcc
	v_or_b32_e32 v7, v7, v8
	v_add_u32_e32 v3, v3, v7
	v_mov_b32_e32 v7, 0x7c00
	v_cmp_gt_i32_e32 vcc, 31, v6
	v_mov_b32_e32 v8, 0x7e00
	s_nop 0
	v_cndmask_b32_e32 v3, v7, v3, vcc
	v_cmp_ne_u32_e32 vcc, 0, v2
	s_nop 1
	v_cndmask_b32_e32 v2, v7, v8, vcc
	v_cmp_eq_u32_e32 vcc, s4, v6
	s_mov_b32 s4, 0x8000
	s_nop 0
	v_cndmask_b32_e32 v2, v3, v2, vcc
	v_lshrrev_b32_e32 v3, 16, v1
	v_and_or_b32 v2, v3, s4, v2
	global_store_short v[4:5], v2, off
.LBB9_490:
	s_mov_b64 s[4:5], 0
.LBB9_491:
	s_andn2_b64 vcc, exec, s[4:5]
	s_cbranch_vccnz .LBB9_507
; %bb.492:
	s_sext_i32_i16 s6, s10
	s_cmp_lt_i32 s6, 2
	s_mov_b64 s[4:5], -1
	s_cbranch_scc1 .LBB9_502
; %bb.493:
	s_cmp_lt_i32 s6, 3
	s_cbranch_scc1 .LBB9_499
; %bb.494:
	s_cmp_gt_i32 s6, 3
	s_cbranch_scc0 .LBB9_496
; %bb.495:
	v_trunc_f64_e32 v[2:3], v[0:1]
	s_movk_i32 s4, 0xffe0
	v_ldexp_f64 v[6:7], v[2:3], s4
	v_floor_f64_e32 v[6:7], v[6:7]
	v_fmac_f64_e32 v[2:3], 0xc1f00000, v[6:7]
	v_cvt_i32_f64_e32 v9, v[6:7]
	v_cvt_u32_f64_e32 v8, v[2:3]
	s_mov_b64 s[4:5], 0
	global_store_dwordx2 v[4:5], v[8:9], off
.LBB9_496:
	s_andn2_b64 vcc, exec, s[4:5]
	s_cbranch_vccnz .LBB9_498
; %bb.497:
	v_cvt_i32_f64_e32 v2, v[0:1]
	global_store_dword v[4:5], v2, off
.LBB9_498:
	s_mov_b64 s[4:5], 0
.LBB9_499:
	s_andn2_b64 vcc, exec, s[4:5]
	s_cbranch_vccnz .LBB9_501
; %bb.500:
	v_cvt_i32_f64_e32 v2, v[0:1]
	global_store_short v[4:5], v2, off
.LBB9_501:
	s_mov_b64 s[4:5], 0
.LBB9_502:
	s_andn2_b64 vcc, exec, s[4:5]
	s_cbranch_vccnz .LBB9_507
; %bb.503:
	s_sext_i32_i16 s4, s10
	s_cmp_gt_i32 s4, 0
	s_mov_b64 s[4:5], -1
	s_cbranch_scc0 .LBB9_505
; %bb.504:
	v_cvt_i32_f64_e32 v2, v[0:1]
	s_mov_b64 s[4:5], 0
	global_store_byte v[4:5], v2, off
.LBB9_505:
	s_andn2_b64 vcc, exec, s[4:5]
	s_cbranch_vccnz .LBB9_507
; %bb.506:
	v_trunc_f64_e32 v[0:1], v[0:1]
	s_movk_i32 s4, 0xffe0
	v_ldexp_f64 v[2:3], v[0:1], s4
	v_floor_f64_e32 v[2:3], v[2:3]
	v_fmac_f64_e32 v[0:1], 0xc1f00000, v[2:3]
	v_cvt_u32_f64_e32 v0, v[0:1]
	global_store_byte v[4:5], v0, off
.LBB9_507:
	s_or_b64 exec, exec, s[2:3]
	s_and_b64 s[42:43], s[0:1], exec
                                        ; implicit-def: $vgpr42
                                        ; implicit-def: $vgpr43
                                        ; implicit-def: $vgpr44
.LBB9_508:
	s_or_saveexec_b64 s[40:41], s[40:41]
	s_mov_b64 s[0:1], 0
                                        ; implicit-def: $sgpr12
                                        ; implicit-def: $vgpr4_vgpr5
                                        ; implicit-def: $vgpr0_vgpr1
	s_xor_b64 exec, exec, s[40:41]
	s_cbranch_execz .LBB9_941
; %bb.509:
	s_getpc_b64 s[34:35]
	s_add_u32 s34, s34, _ZN2at6native6invokeIZZZNS0_12_GLOBAL__N_121bessel_y1_kernel_cudaERNS_18TensorIteratorBaseEENKUlvE_clEvENKUlvE_clEvEUldE_i15function_traitsIS7_EEENT1_11result_typeERKT_PrKPcPKT0_PKN3c1010ScalarTypeEi@rel32@lo+4
	s_addc_u32 s35, s35, _ZN2at6native6invokeIZZZNS0_12_GLOBAL__N_121bessel_y1_kernel_cudaERNS_18TensorIteratorBaseEENKUlvE_clEvENKUlvE_clEvEUldE_i15function_traitsIS7_EEENT1_11result_typeERKT_PrKPcPKT0_PKN3c1010ScalarTypeEi@rel32@hi+12
	v_mov_b32_e32 v0, s38
	v_mov_b32_e32 v1, s39
	;; [unrolled: 1-line block ×5, first 2 shown]
	v_add_u32_e32 v36, 0x80, v42
	v_add_u32_e32 v37, 0x100, v42
	s_swappc_b64 s[30:31], s[34:35]
	v_mov_b32_e32 v40, v0
	v_mov_b32_e32 v41, v1
	v_mov_b32_e32 v0, s38
	v_mov_b32_e32 v1, s39
	v_mov_b32_e32 v2, s29
	v_mov_b32_e32 v3, v43
	v_mov_b32_e32 v4, v36
	s_swappc_b64 s[30:31], s[34:35]
	v_mov_b32_e32 v38, v0
	v_mov_b32_e32 v39, v1
	v_mov_b32_e32 v0, s38
	v_mov_b32_e32 v1, s39
	v_mov_b32_e32 v2, s29
	v_mov_b32_e32 v3, v43
	v_mov_b32_e32 v4, v37
	;; [unrolled: 8-line block ×3, first 2 shown]
	s_swappc_b64 s[30:31], s[34:35]
	v_mul_lo_u32 v2, s28, v42
	v_ashrrev_i32_e32 v3, 31, v2
	s_and_b32 s12, s33, 0xff
	s_cmp_lt_i32 s12, 11
	v_lshl_add_u64 v[4:5], s[36:37], 0, v[2:3]
	s_cbranch_scc1 .LBB9_588
; %bb.510:
	s_and_b32 s10, 0xffff, s12
	s_mov_b64 s[2:3], -1
	s_mov_b64 s[4:5], 0
	s_cmp_gt_i32 s10, 25
	s_mov_b64 s[6:7], 0
	s_mov_b64 s[0:1], 0
	s_cbranch_scc0 .LBB9_543
; %bb.511:
	s_cmp_gt_i32 s10, 28
	s_cbranch_scc0 .LBB9_526
; %bb.512:
	s_cmp_gt_i32 s10, 43
	s_cbranch_scc0 .LBB9_522
; %bb.513:
	s_cmp_gt_i32 s10, 45
	s_cbranch_scc0 .LBB9_516
; %bb.514:
	s_mov_b64 s[0:1], -1
	s_mov_b64 s[2:3], 0
	s_cmp_eq_u32 s10, 46
	s_cbranch_scc0 .LBB9_516
; %bb.515:
	v_cvt_f32_f64_e32 v3, v[40:41]
	v_bfe_u32 v6, v3, 16, 1
	s_movk_i32 s0, 0x7fff
	v_add3_u32 v6, v3, v6, s0
	v_cmp_o_f32_e32 vcc, v3, v3
	v_mov_b32_e32 v3, 0x7fc0
	s_mov_b64 s[0:1], 0
	v_cndmask_b32_sdwa v3, v3, v6, vcc dst_sel:DWORD dst_unused:UNUSED_PAD src0_sel:DWORD src1_sel:WORD_1
	global_store_dword v[4:5], v3, off
	s_mov_b64 s[6:7], -1
.LBB9_516:
	s_and_b64 vcc, exec, s[2:3]
	s_cbranch_vccz .LBB9_521
; %bb.517:
	s_cmp_eq_u32 s10, 44
	s_mov_b64 s[0:1], -1
	s_cbranch_scc0 .LBB9_521
; %bb.518:
	v_cvt_f32_f64_e32 v3, v[40:41]
	v_bfe_u32 v6, v3, 23, 8
	s_movk_i32 s0, 0xff
	v_cmp_ne_u32_e32 vcc, s0, v6
	v_mov_b32_e32 v7, 0xff
	s_and_saveexec_b64 s[2:3], vcc
; %bb.519:
	s_mov_b32 s0, 0x3fffff
	v_lshrrev_b32_e32 v7, 23, v3
	v_and_b32_e32 v8, 0x400000, v3
	v_and_or_b32 v3, v3, s0, v6
	v_cmp_ne_u32_e32 vcc, 0, v8
	v_cmp_ne_u32_e64 s[0:1], 0, v3
	s_and_b64 s[0:1], vcc, s[0:1]
	s_nop 0
	v_cndmask_b32_e64 v3, 0, 1, s[0:1]
	v_add_u32_e32 v7, v7, v3
; %bb.520:
	s_or_b64 exec, exec, s[2:3]
	s_mov_b64 s[0:1], 0
	s_mov_b64 s[6:7], -1
	global_store_byte v[4:5], v7, off
.LBB9_521:
	s_mov_b64 s[2:3], 0
.LBB9_522:
	s_and_b64 vcc, exec, s[2:3]
	s_cbranch_vccz .LBB9_525
; %bb.523:
	s_cmp_eq_u32 s10, 29
	s_mov_b64 s[0:1], -1
	s_cbranch_scc0 .LBB9_525
; %bb.524:
	v_trunc_f64_e32 v[6:7], v[40:41]
	s_movk_i32 s0, 0xffe0
	v_ldexp_f64 v[8:9], v[6:7], s0
	v_floor_f64_e32 v[8:9], v[8:9]
	v_fmac_f64_e32 v[6:7], 0xc1f00000, v[8:9]
	v_cvt_u32_f64_e32 v11, v[8:9]
	v_cvt_u32_f64_e32 v10, v[6:7]
	global_store_dwordx2 v[4:5], v[10:11], off
	s_mov_b64 s[0:1], 0
	s_mov_b64 s[6:7], -1
.LBB9_525:
	s_mov_b64 s[2:3], 0
.LBB9_526:
	s_and_b64 vcc, exec, s[2:3]
	s_cbranch_vccz .LBB9_542
; %bb.527:
	s_cmp_lt_i32 s10, 27
	s_mov_b64 s[2:3], -1
	s_cbranch_scc1 .LBB9_533
; %bb.528:
	s_cmp_gt_i32 s10, 27
	v_cvt_u32_f64_e32 v3, v[40:41]
	s_cbranch_scc0 .LBB9_530
; %bb.529:
	s_mov_b64 s[2:3], 0
	global_store_dword v[4:5], v3, off
.LBB9_530:
	s_andn2_b64 vcc, exec, s[2:3]
	s_cbranch_vccnz .LBB9_532
; %bb.531:
	global_store_short v[4:5], v3, off
.LBB9_532:
	s_mov_b64 s[2:3], 0
.LBB9_533:
	s_andn2_b64 vcc, exec, s[2:3]
	s_cbranch_vccnz .LBB9_541
; %bb.534:
	v_cvt_f32_f64_e32 v3, v[40:41]
	v_and_b32_e32 v6, 0x7fffffff, v3
	s_mov_b32 s2, 0x43800000
	v_cmp_gt_u32_e32 vcc, s2, v6
	v_mov_b32_e32 v7, 0x80
	s_and_saveexec_b64 s[2:3], vcc
	s_cbranch_execz .LBB9_540
; %bb.535:
	s_mov_b32 s6, 0x3bffffff
	v_cmp_lt_u32_e32 vcc, s6, v6
	s_mov_b64 s[6:7], 0
                                        ; implicit-def: $vgpr6
	s_and_saveexec_b64 s[8:9], vcc
	s_xor_b64 s[8:9], exec, s[8:9]
	s_cbranch_execz .LBB9_985
; %bb.536:
	v_bfe_u32 v6, v3, 20, 1
	s_mov_b32 s11, 0x487ffff
	v_add3_u32 v6, v3, v6, s11
	s_mov_b64 s[6:7], exec
	v_lshrrev_b32_e32 v6, 20, v6
	s_andn2_saveexec_b64 s[8:9], s[8:9]
	s_cbranch_execnz .LBB9_986
.LBB9_537:
	s_or_b64 exec, exec, s[8:9]
	v_mov_b32_e32 v7, 0
	s_and_saveexec_b64 s[8:9], s[6:7]
.LBB9_538:
	v_lshrrev_b32_e32 v3, 24, v3
	s_movk_i32 s6, 0x80
	v_and_or_b32 v7, v3, s6, v6
.LBB9_539:
	s_or_b64 exec, exec, s[8:9]
.LBB9_540:
	s_or_b64 exec, exec, s[2:3]
	global_store_byte v[4:5], v7, off
.LBB9_541:
	s_mov_b64 s[6:7], -1
.LBB9_542:
	s_mov_b64 s[2:3], 0
.LBB9_543:
	s_and_b64 vcc, exec, s[2:3]
	s_cbranch_vccz .LBB9_583
; %bb.544:
	s_cmp_gt_i32 s10, 22
	s_mov_b64 s[2:3], -1
	s_cbranch_scc0 .LBB9_576
; %bb.545:
	s_cmp_lt_i32 s10, 24
	s_cbranch_scc1 .LBB9_565
; %bb.546:
	s_cmp_gt_i32 s10, 24
	s_cbranch_scc0 .LBB9_554
; %bb.547:
	v_cvt_f32_f64_e32 v3, v[40:41]
	v_and_b32_e32 v6, 0x7fffffff, v3
	s_mov_b32 s2, 0x47800000
	v_cmp_gt_u32_e32 vcc, s2, v6
	v_mov_b32_e32 v7, 0x80
	s_and_saveexec_b64 s[2:3], vcc
	s_cbranch_execz .LBB9_553
; %bb.548:
	s_mov_b32 s4, 0x37ffffff
	v_cmp_lt_u32_e32 vcc, s4, v6
	s_mov_b64 s[4:5], 0
                                        ; implicit-def: $vgpr6
	s_and_saveexec_b64 s[6:7], vcc
	s_xor_b64 s[6:7], exec, s[6:7]
	s_cbranch_execz .LBB9_988
; %bb.549:
	v_bfe_u32 v6, v3, 21, 1
	s_mov_b32 s8, 0x88fffff
	v_add3_u32 v6, v3, v6, s8
	s_mov_b64 s[4:5], exec
	v_lshrrev_b32_e32 v6, 21, v6
	s_andn2_saveexec_b64 s[6:7], s[6:7]
	s_cbranch_execnz .LBB9_989
.LBB9_550:
	s_or_b64 exec, exec, s[6:7]
	v_mov_b32_e32 v7, 0
	s_and_saveexec_b64 s[6:7], s[4:5]
.LBB9_551:
	v_lshrrev_b32_e32 v3, 24, v3
	s_movk_i32 s4, 0x80
	v_and_or_b32 v7, v3, s4, v6
.LBB9_552:
	s_or_b64 exec, exec, s[6:7]
.LBB9_553:
	s_or_b64 exec, exec, s[2:3]
	s_mov_b64 s[2:3], 0
	global_store_byte v[4:5], v7, off
.LBB9_554:
	s_and_b64 vcc, exec, s[2:3]
	s_cbranch_vccz .LBB9_564
; %bb.555:
	v_cvt_f32_f64_e32 v3, v[40:41]
	v_and_b32_e32 v7, 0x7fffffff, v3
	s_mov_b32 s2, 0x43f00000
	v_cmp_gt_u32_e32 vcc, s2, v7
                                        ; implicit-def: $vgpr6
	s_and_saveexec_b64 s[2:3], vcc
	s_xor_b64 s[2:3], exec, s[2:3]
	s_cbranch_execz .LBB9_561
; %bb.556:
	s_mov_b32 s4, 0x3c7fffff
	v_cmp_lt_u32_e32 vcc, s4, v7
                                        ; implicit-def: $vgpr6
	s_and_saveexec_b64 s[4:5], vcc
	s_xor_b64 s[4:5], exec, s[4:5]
; %bb.557:
	v_bfe_u32 v6, v3, 20, 1
	s_mov_b32 s6, 0x407ffff
	v_add3_u32 v6, v3, v6, s6
	v_lshrrev_b32_e32 v7, 20, v6
	v_and_b32_e32 v6, 0xff00000, v6
	s_mov_b32 s6, 0x7f00000
	v_mov_b32_e32 v8, 0x7e
	v_cmp_ne_u32_e32 vcc, s6, v6
	s_nop 1
	v_cndmask_b32_e32 v6, v8, v7, vcc
; %bb.558:
	s_andn2_saveexec_b64 s[4:5], s[4:5]
; %bb.559:
	s_mov_b32 s6, 0x46800000
	v_add_f32_e64 v6, |v3|, s6
; %bb.560:
	s_or_b64 exec, exec, s[4:5]
                                        ; implicit-def: $vgpr7
.LBB9_561:
	s_andn2_saveexec_b64 s[2:3], s[2:3]
; %bb.562:
	s_mov_b32 s4, 0x7f800000
	v_mov_b32_e32 v6, 0x7e
	v_mov_b32_e32 v8, 0x7f
	v_cmp_lt_u32_e32 vcc, s4, v7
	s_nop 1
	v_cndmask_b32_e32 v6, v6, v8, vcc
; %bb.563:
	s_or_b64 exec, exec, s[2:3]
	v_lshrrev_b32_e32 v3, 24, v3
	s_movk_i32 s2, 0x80
	v_and_or_b32 v3, v3, s2, v6
	global_store_byte v[4:5], v3, off
.LBB9_564:
	s_mov_b64 s[2:3], 0
.LBB9_565:
	s_andn2_b64 vcc, exec, s[2:3]
	s_cbranch_vccnz .LBB9_575
; %bb.566:
	v_cvt_f32_f64_e32 v3, v[40:41]
	v_and_b32_e32 v7, 0x7fffffff, v3
	s_mov_b32 s2, 0x47800000
	v_cmp_gt_u32_e32 vcc, s2, v7
                                        ; implicit-def: $vgpr6
	s_and_saveexec_b64 s[2:3], vcc
	s_xor_b64 s[2:3], exec, s[2:3]
	s_cbranch_execz .LBB9_572
; %bb.567:
	s_mov_b32 s4, 0x387fffff
	v_cmp_lt_u32_e32 vcc, s4, v7
                                        ; implicit-def: $vgpr6
	s_and_saveexec_b64 s[4:5], vcc
	s_xor_b64 s[4:5], exec, s[4:5]
; %bb.568:
	v_bfe_u32 v6, v3, 21, 1
	s_mov_b32 s6, 0x80fffff
	v_add3_u32 v6, v3, v6, s6
	v_lshrrev_b32_e32 v6, 21, v6
; %bb.569:
	s_andn2_saveexec_b64 s[4:5], s[4:5]
; %bb.570:
	s_mov_b32 s6, 0x43000000
	v_add_f32_e64 v6, |v3|, s6
; %bb.571:
	s_or_b64 exec, exec, s[4:5]
                                        ; implicit-def: $vgpr7
.LBB9_572:
	s_andn2_saveexec_b64 s[2:3], s[2:3]
; %bb.573:
	s_mov_b32 s4, 0x7f800000
	v_mov_b32_e32 v6, 0x7c
	v_mov_b32_e32 v8, 0x7f
	v_cmp_lt_u32_e32 vcc, s4, v7
	s_nop 1
	v_cndmask_b32_e32 v6, v6, v8, vcc
; %bb.574:
	s_or_b64 exec, exec, s[2:3]
	v_lshrrev_b32_e32 v3, 24, v3
	s_movk_i32 s2, 0x80
	v_and_or_b32 v3, v3, s2, v6
	global_store_byte v[4:5], v3, off
.LBB9_575:
	s_mov_b64 s[2:3], 0
	s_mov_b64 s[6:7], -1
.LBB9_576:
	s_andn2_b64 vcc, exec, s[2:3]
	s_mov_b64 s[4:5], 0
	s_cbranch_vccnz .LBB9_583
; %bb.577:
	s_cmp_gt_i32 s10, 14
	s_mov_b64 s[2:3], -1
	s_cbranch_scc0 .LBB9_581
; %bb.578:
	s_cmp_eq_u32 s10, 15
	s_mov_b64 s[0:1], -1
	s_cbranch_scc0 .LBB9_580
; %bb.579:
	v_cvt_f32_f64_e32 v3, v[40:41]
	v_bfe_u32 v6, v3, 16, 1
	s_movk_i32 s0, 0x7fff
	v_add3_u32 v6, v3, v6, s0
	v_cmp_o_f32_e32 vcc, v3, v3
	v_mov_b32_e32 v3, 0x7fc0
	s_mov_b64 s[0:1], 0
	v_cndmask_b32_sdwa v3, v3, v6, vcc dst_sel:DWORD dst_unused:UNUSED_PAD src0_sel:DWORD src1_sel:WORD_1
	global_store_short v[4:5], v3, off
	s_mov_b64 s[6:7], -1
.LBB9_580:
	s_mov_b64 s[2:3], 0
.LBB9_581:
	s_and_b64 vcc, exec, s[2:3]
	s_cbranch_vccz .LBB9_583
; %bb.582:
	s_cmp_lg_u32 s10, 11
	s_mov_b64 s[4:5], -1
	s_cselect_b64 s[0:1], -1, 0
.LBB9_583:
	s_and_b64 vcc, exec, s[0:1]
	s_mov_b64 s[2:3], s[42:43]
	s_cbranch_vccnz .LBB9_987
; %bb.584:
	s_andn2_b64 vcc, exec, s[4:5]
	s_cbranch_vccnz .LBB9_586
.LBB9_585:
	v_cmp_neq_f64_e32 vcc, 0, v[40:41]
	s_mov_b64 s[6:7], -1
	s_nop 0
	v_cndmask_b32_e64 v3, 0, 1, vcc
	global_store_byte v[4:5], v3, off
.LBB9_586:
.LBB9_587:
	s_andn2_b64 vcc, exec, s[6:7]
	s_cbranch_vccz .LBB9_627
	s_branch .LBB9_939
.LBB9_588:
	s_mov_b64 s[6:7], 0
	s_mov_b64 s[2:3], s[42:43]
	s_cbranch_execz .LBB9_587
; %bb.589:
	s_and_b32 s4, 0xffff, s12
	s_cmp_lt_i32 s4, 5
	s_mov_b64 s[0:1], -1
	s_cbranch_scc1 .LBB9_610
; %bb.590:
	s_cmp_lt_i32 s4, 8
	s_cbranch_scc1 .LBB9_600
; %bb.591:
	s_cmp_lt_i32 s4, 9
	s_cbranch_scc1 .LBB9_597
; %bb.592:
	s_cmp_gt_i32 s4, 9
	s_cbranch_scc0 .LBB9_594
; %bb.593:
	v_mov_b32_e32 v42, 0
	v_mov_b32_e32 v43, v42
	global_store_dwordx4 v[4:5], v[40:43], off
	s_mov_b64 s[0:1], 0
.LBB9_594:
	s_andn2_b64 vcc, exec, s[0:1]
	s_cbranch_vccnz .LBB9_596
; %bb.595:
	v_cvt_f32_f64_e32 v6, v[40:41]
	v_mov_b32_e32 v7, 0
	global_store_dwordx2 v[4:5], v[6:7], off
.LBB9_596:
	s_mov_b64 s[0:1], 0
.LBB9_597:
	s_andn2_b64 vcc, exec, s[0:1]
	s_cbranch_vccnz .LBB9_599
; %bb.598:
	s_movk_i32 s0, 0x1ff
	v_and_or_b32 v3, v41, s0, v40
	v_cmp_ne_u32_e32 vcc, 0, v3
	v_lshrrev_b32_e32 v6, 8, v41
	s_movk_i32 s0, 0xffe
	v_cndmask_b32_e64 v3, 0, 1, vcc
	v_bfe_u32 v7, v41, 20, 11
	v_and_or_b32 v3, v6, s0, v3
	v_sub_u32_e32 v8, 0x3f1, v7
	v_or_b32_e32 v6, 0x1000, v3
	v_med3_i32 v8, v8, 0, 13
	v_lshrrev_b32_e32 v9, v8, v6
	v_lshlrev_b32_e32 v8, v8, v9
	v_cmp_ne_u32_e32 vcc, v8, v6
	v_add_u32_e32 v7, 0xfffffc10, v7
	v_lshl_or_b32 v8, v7, 12, v3
	v_cndmask_b32_e64 v6, 0, 1, vcc
	v_or_b32_e32 v6, v9, v6
	v_cmp_gt_i32_e32 vcc, 1, v7
	s_movk_i32 s0, 0x40f
	s_nop 0
	v_cndmask_b32_e32 v6, v8, v6, vcc
	v_and_b32_e32 v8, 7, v6
	v_cmp_lt_i32_e32 vcc, 5, v8
	v_lshrrev_b32_e32 v6, 2, v6
	s_nop 0
	v_cndmask_b32_e64 v9, 0, 1, vcc
	v_cmp_eq_u32_e32 vcc, 3, v8
	s_nop 1
	v_cndmask_b32_e64 v8, 0, 1, vcc
	v_or_b32_e32 v8, v8, v9
	v_add_u32_e32 v6, v6, v8
	v_mov_b32_e32 v8, 0x7c00
	v_cmp_gt_i32_e32 vcc, 31, v7
	v_mov_b32_e32 v9, 0x7e00
	s_nop 0
	v_cndmask_b32_e32 v6, v8, v6, vcc
	v_cmp_ne_u32_e32 vcc, 0, v3
	s_nop 1
	v_cndmask_b32_e32 v3, v8, v9, vcc
	v_cmp_eq_u32_e32 vcc, s0, v7
	s_mov_b32 s0, 0x8000
	s_nop 0
	v_cndmask_b32_e32 v3, v6, v3, vcc
	v_and_b32_sdwa v6, v41, s0 dst_sel:DWORD dst_unused:UNUSED_PAD src0_sel:WORD_1 src1_sel:DWORD
	s_mov_b32 s0, 0xffff
	v_bitop3_b32 v3, v6, s0, v3 bitop3:0xc8
	global_store_dword v[4:5], v3, off
.LBB9_599:
	s_mov_b64 s[0:1], 0
.LBB9_600:
	s_andn2_b64 vcc, exec, s[0:1]
	s_cbranch_vccnz .LBB9_609
; %bb.601:
	s_cmp_lt_i32 s4, 6
	s_mov_b64 s[0:1], -1
	s_cbranch_scc1 .LBB9_607
; %bb.602:
	s_cmp_gt_i32 s4, 6
	s_cbranch_scc0 .LBB9_604
; %bb.603:
	global_store_dwordx2 v[4:5], v[40:41], off
	s_mov_b64 s[0:1], 0
.LBB9_604:
	s_andn2_b64 vcc, exec, s[0:1]
	s_cbranch_vccnz .LBB9_606
; %bb.605:
	v_cvt_f32_f64_e32 v3, v[40:41]
	global_store_dword v[4:5], v3, off
.LBB9_606:
	s_mov_b64 s[0:1], 0
.LBB9_607:
	s_andn2_b64 vcc, exec, s[0:1]
	s_cbranch_vccnz .LBB9_609
; %bb.608:
	s_movk_i32 s0, 0x1ff
	v_and_or_b32 v3, v41, s0, v40
	v_cmp_ne_u32_e32 vcc, 0, v3
	v_lshrrev_b32_e32 v6, 8, v41
	s_movk_i32 s0, 0xffe
	v_cndmask_b32_e64 v3, 0, 1, vcc
	v_bfe_u32 v7, v41, 20, 11
	v_and_or_b32 v3, v6, s0, v3
	v_sub_u32_e32 v8, 0x3f1, v7
	v_or_b32_e32 v6, 0x1000, v3
	v_med3_i32 v8, v8, 0, 13
	v_lshrrev_b32_e32 v9, v8, v6
	v_lshlrev_b32_e32 v8, v8, v9
	v_cmp_ne_u32_e32 vcc, v8, v6
	v_add_u32_e32 v7, 0xfffffc10, v7
	v_lshl_or_b32 v8, v7, 12, v3
	v_cndmask_b32_e64 v6, 0, 1, vcc
	v_or_b32_e32 v6, v9, v6
	v_cmp_gt_i32_e32 vcc, 1, v7
	s_movk_i32 s0, 0x40f
	s_nop 0
	v_cndmask_b32_e32 v6, v8, v6, vcc
	v_and_b32_e32 v8, 7, v6
	v_cmp_lt_i32_e32 vcc, 5, v8
	v_lshrrev_b32_e32 v6, 2, v6
	s_nop 0
	v_cndmask_b32_e64 v9, 0, 1, vcc
	v_cmp_eq_u32_e32 vcc, 3, v8
	s_nop 1
	v_cndmask_b32_e64 v8, 0, 1, vcc
	v_or_b32_e32 v8, v8, v9
	v_add_u32_e32 v6, v6, v8
	v_mov_b32_e32 v8, 0x7c00
	v_cmp_gt_i32_e32 vcc, 31, v7
	v_mov_b32_e32 v9, 0x7e00
	s_nop 0
	v_cndmask_b32_e32 v6, v8, v6, vcc
	v_cmp_ne_u32_e32 vcc, 0, v3
	s_nop 1
	v_cndmask_b32_e32 v3, v8, v9, vcc
	v_cmp_eq_u32_e32 vcc, s0, v7
	s_mov_b32 s0, 0x8000
	s_nop 0
	v_cndmask_b32_e32 v3, v6, v3, vcc
	v_lshrrev_b32_e32 v6, 16, v41
	v_and_or_b32 v3, v6, s0, v3
	global_store_short v[4:5], v3, off
.LBB9_609:
	s_mov_b64 s[0:1], 0
.LBB9_610:
	s_andn2_b64 vcc, exec, s[0:1]
	s_cbranch_vccnz .LBB9_626
; %bb.611:
	s_cmp_lt_i32 s4, 2
	s_mov_b64 s[0:1], -1
	s_cbranch_scc1 .LBB9_621
; %bb.612:
	s_cmp_lt_i32 s4, 3
	s_cbranch_scc1 .LBB9_618
; %bb.613:
	s_cmp_gt_i32 s4, 3
	s_cbranch_scc0 .LBB9_615
; %bb.614:
	v_trunc_f64_e32 v[6:7], v[40:41]
	s_movk_i32 s0, 0xffe0
	v_ldexp_f64 v[8:9], v[6:7], s0
	v_floor_f64_e32 v[8:9], v[8:9]
	v_fmac_f64_e32 v[6:7], 0xc1f00000, v[8:9]
	v_cvt_i32_f64_e32 v11, v[8:9]
	v_cvt_u32_f64_e32 v10, v[6:7]
	global_store_dwordx2 v[4:5], v[10:11], off
	s_mov_b64 s[0:1], 0
.LBB9_615:
	s_andn2_b64 vcc, exec, s[0:1]
	s_cbranch_vccnz .LBB9_617
; %bb.616:
	v_cvt_i32_f64_e32 v3, v[40:41]
	global_store_dword v[4:5], v3, off
.LBB9_617:
	s_mov_b64 s[0:1], 0
.LBB9_618:
	s_andn2_b64 vcc, exec, s[0:1]
	s_cbranch_vccnz .LBB9_620
; %bb.619:
	v_cvt_i32_f64_e32 v3, v[40:41]
	global_store_short v[4:5], v3, off
.LBB9_620:
	s_mov_b64 s[0:1], 0
.LBB9_621:
	s_andn2_b64 vcc, exec, s[0:1]
	s_cbranch_vccnz .LBB9_626
; %bb.622:
	s_cmp_gt_i32 s4, 0
	s_mov_b64 s[0:1], -1
	s_cbranch_scc0 .LBB9_624
; %bb.623:
	v_cvt_i32_f64_e32 v3, v[40:41]
	global_store_byte v[4:5], v3, off
	s_mov_b64 s[0:1], 0
.LBB9_624:
	s_andn2_b64 vcc, exec, s[0:1]
	s_cbranch_vccnz .LBB9_626
; %bb.625:
	v_trunc_f64_e32 v[6:7], v[40:41]
	s_movk_i32 s0, 0xffe0
	v_ldexp_f64 v[8:9], v[6:7], s0
	v_floor_f64_e32 v[8:9], v[8:9]
	v_fmac_f64_e32 v[6:7], 0xc1f00000, v[8:9]
	v_cvt_u32_f64_e32 v3, v[6:7]
	global_store_byte v[4:5], v3, off
.LBB9_626:
.LBB9_627:
	s_lshl_b32 s13, s28, 7
	v_add_u32_e32 v2, s13, v2
	v_ashrrev_i32_e32 v3, 31, v2
	s_cmp_lt_i32 s12, 11
	v_lshl_add_u64 v[4:5], s[36:37], 0, v[2:3]
	s_cbranch_scc1 .LBB9_706
; %bb.628:
	s_and_b32 s14, 0xffff, s12
	s_mov_b64 s[8:9], -1
	s_mov_b64 s[4:5], 0
	s_cmp_gt_i32 s14, 25
	s_mov_b64 s[6:7], 0
	s_mov_b64 s[0:1], 0
	s_cbranch_scc0 .LBB9_661
; %bb.629:
	s_cmp_gt_i32 s14, 28
	s_cbranch_scc0 .LBB9_644
; %bb.630:
	s_cmp_gt_i32 s14, 43
	;; [unrolled: 3-line block ×3, first 2 shown]
	s_cbranch_scc0 .LBB9_634
; %bb.632:
	s_mov_b64 s[0:1], -1
	s_mov_b64 s[8:9], 0
	s_cmp_eq_u32 s14, 46
	s_cbranch_scc0 .LBB9_634
; %bb.633:
	v_cvt_f32_f64_e32 v3, v[38:39]
	v_bfe_u32 v6, v3, 16, 1
	s_movk_i32 s0, 0x7fff
	v_add3_u32 v6, v3, v6, s0
	v_cmp_o_f32_e32 vcc, v3, v3
	v_mov_b32_e32 v3, 0x7fc0
	s_mov_b64 s[0:1], 0
	v_cndmask_b32_sdwa v3, v3, v6, vcc dst_sel:DWORD dst_unused:UNUSED_PAD src0_sel:DWORD src1_sel:WORD_1
	global_store_dword v[4:5], v3, off
	s_mov_b64 s[6:7], -1
.LBB9_634:
	s_and_b64 vcc, exec, s[8:9]
	s_cbranch_vccz .LBB9_639
; %bb.635:
	s_cmp_eq_u32 s14, 44
	s_mov_b64 s[0:1], -1
	s_cbranch_scc0 .LBB9_639
; %bb.636:
	v_cvt_f32_f64_e32 v3, v[38:39]
	v_bfe_u32 v6, v3, 23, 8
	s_movk_i32 s0, 0xff
	v_cmp_ne_u32_e32 vcc, s0, v6
	v_mov_b32_e32 v7, 0xff
	s_and_saveexec_b64 s[6:7], vcc
; %bb.637:
	s_mov_b32 s0, 0x3fffff
	v_lshrrev_b32_e32 v7, 23, v3
	v_and_b32_e32 v8, 0x400000, v3
	v_and_or_b32 v3, v3, s0, v6
	v_cmp_ne_u32_e32 vcc, 0, v8
	v_cmp_ne_u32_e64 s[0:1], 0, v3
	s_and_b64 s[0:1], vcc, s[0:1]
	s_nop 0
	v_cndmask_b32_e64 v3, 0, 1, s[0:1]
	v_add_u32_e32 v7, v7, v3
; %bb.638:
	s_or_b64 exec, exec, s[6:7]
	s_mov_b64 s[0:1], 0
	s_mov_b64 s[6:7], -1
	global_store_byte v[4:5], v7, off
.LBB9_639:
	s_mov_b64 s[8:9], 0
.LBB9_640:
	s_and_b64 vcc, exec, s[8:9]
	s_cbranch_vccz .LBB9_643
; %bb.641:
	s_cmp_eq_u32 s14, 29
	s_mov_b64 s[0:1], -1
	s_cbranch_scc0 .LBB9_643
; %bb.642:
	v_trunc_f64_e32 v[6:7], v[38:39]
	s_movk_i32 s0, 0xffe0
	v_ldexp_f64 v[8:9], v[6:7], s0
	v_floor_f64_e32 v[8:9], v[8:9]
	v_fmac_f64_e32 v[6:7], 0xc1f00000, v[8:9]
	v_cvt_u32_f64_e32 v11, v[8:9]
	v_cvt_u32_f64_e32 v10, v[6:7]
	global_store_dwordx2 v[4:5], v[10:11], off
	s_mov_b64 s[0:1], 0
	s_mov_b64 s[6:7], -1
.LBB9_643:
	s_mov_b64 s[8:9], 0
.LBB9_644:
	s_and_b64 vcc, exec, s[8:9]
	s_cbranch_vccz .LBB9_660
; %bb.645:
	s_cmp_lt_i32 s14, 27
	s_mov_b64 s[6:7], -1
	s_cbranch_scc1 .LBB9_651
; %bb.646:
	s_cmp_gt_i32 s14, 27
	v_cvt_u32_f64_e32 v3, v[38:39]
	s_cbranch_scc0 .LBB9_648
; %bb.647:
	s_mov_b64 s[6:7], 0
	global_store_dword v[4:5], v3, off
.LBB9_648:
	s_andn2_b64 vcc, exec, s[6:7]
	s_cbranch_vccnz .LBB9_650
; %bb.649:
	global_store_short v[4:5], v3, off
.LBB9_650:
	s_mov_b64 s[6:7], 0
.LBB9_651:
	s_andn2_b64 vcc, exec, s[6:7]
	s_cbranch_vccnz .LBB9_659
; %bb.652:
	v_cvt_f32_f64_e32 v3, v[38:39]
	v_and_b32_e32 v6, 0x7fffffff, v3
	s_mov_b32 s6, 0x43800000
	v_cmp_gt_u32_e32 vcc, s6, v6
	v_mov_b32_e32 v7, 0x80
	s_and_saveexec_b64 s[6:7], vcc
	s_cbranch_execz .LBB9_658
; %bb.653:
	s_mov_b32 s8, 0x3bffffff
	v_cmp_lt_u32_e32 vcc, s8, v6
	s_mov_b64 s[8:9], 0
                                        ; implicit-def: $vgpr6
	s_and_saveexec_b64 s[10:11], vcc
	s_xor_b64 s[10:11], exec, s[10:11]
	s_cbranch_execz .LBB9_990
; %bb.654:
	v_bfe_u32 v6, v3, 20, 1
	s_mov_b32 s15, 0x487ffff
	v_add3_u32 v6, v3, v6, s15
	s_mov_b64 s[8:9], exec
	v_lshrrev_b32_e32 v6, 20, v6
	s_andn2_saveexec_b64 s[10:11], s[10:11]
	s_cbranch_execnz .LBB9_991
.LBB9_655:
	s_or_b64 exec, exec, s[10:11]
	v_mov_b32_e32 v7, 0
	s_and_saveexec_b64 s[10:11], s[8:9]
.LBB9_656:
	v_lshrrev_b32_e32 v3, 24, v3
	s_movk_i32 s8, 0x80
	v_and_or_b32 v7, v3, s8, v6
.LBB9_657:
	s_or_b64 exec, exec, s[10:11]
.LBB9_658:
	s_or_b64 exec, exec, s[6:7]
	global_store_byte v[4:5], v7, off
.LBB9_659:
	s_mov_b64 s[6:7], -1
.LBB9_660:
	s_mov_b64 s[8:9], 0
.LBB9_661:
	s_and_b64 vcc, exec, s[8:9]
	s_cbranch_vccz .LBB9_701
; %bb.662:
	s_cmp_gt_i32 s14, 22
	s_mov_b64 s[4:5], -1
	s_cbranch_scc0 .LBB9_694
; %bb.663:
	s_cmp_lt_i32 s14, 24
	s_cbranch_scc1 .LBB9_683
; %bb.664:
	s_cmp_gt_i32 s14, 24
	s_cbranch_scc0 .LBB9_672
; %bb.665:
	v_cvt_f32_f64_e32 v3, v[38:39]
	v_and_b32_e32 v6, 0x7fffffff, v3
	s_mov_b32 s4, 0x47800000
	v_cmp_gt_u32_e32 vcc, s4, v6
	v_mov_b32_e32 v7, 0x80
	s_and_saveexec_b64 s[4:5], vcc
	s_cbranch_execz .LBB9_671
; %bb.666:
	s_mov_b32 s6, 0x37ffffff
	v_cmp_lt_u32_e32 vcc, s6, v6
	s_mov_b64 s[6:7], 0
                                        ; implicit-def: $vgpr6
	s_and_saveexec_b64 s[8:9], vcc
	s_xor_b64 s[8:9], exec, s[8:9]
	s_cbranch_execz .LBB9_993
; %bb.667:
	v_bfe_u32 v6, v3, 21, 1
	s_mov_b32 s10, 0x88fffff
	v_add3_u32 v6, v3, v6, s10
	s_mov_b64 s[6:7], exec
	v_lshrrev_b32_e32 v6, 21, v6
	s_andn2_saveexec_b64 s[8:9], s[8:9]
	s_cbranch_execnz .LBB9_994
.LBB9_668:
	s_or_b64 exec, exec, s[8:9]
	v_mov_b32_e32 v7, 0
	s_and_saveexec_b64 s[8:9], s[6:7]
.LBB9_669:
	v_lshrrev_b32_e32 v3, 24, v3
	s_movk_i32 s6, 0x80
	v_and_or_b32 v7, v3, s6, v6
.LBB9_670:
	s_or_b64 exec, exec, s[8:9]
.LBB9_671:
	s_or_b64 exec, exec, s[4:5]
	s_mov_b64 s[4:5], 0
	global_store_byte v[4:5], v7, off
.LBB9_672:
	s_and_b64 vcc, exec, s[4:5]
	s_cbranch_vccz .LBB9_682
; %bb.673:
	v_cvt_f32_f64_e32 v3, v[38:39]
	v_and_b32_e32 v7, 0x7fffffff, v3
	s_mov_b32 s4, 0x43f00000
	v_cmp_gt_u32_e32 vcc, s4, v7
                                        ; implicit-def: $vgpr6
	s_and_saveexec_b64 s[4:5], vcc
	s_xor_b64 s[4:5], exec, s[4:5]
	s_cbranch_execz .LBB9_679
; %bb.674:
	s_mov_b32 s6, 0x3c7fffff
	v_cmp_lt_u32_e32 vcc, s6, v7
                                        ; implicit-def: $vgpr6
	s_and_saveexec_b64 s[6:7], vcc
	s_xor_b64 s[6:7], exec, s[6:7]
; %bb.675:
	v_bfe_u32 v6, v3, 20, 1
	s_mov_b32 s8, 0x407ffff
	v_add3_u32 v6, v3, v6, s8
	v_lshrrev_b32_e32 v7, 20, v6
	v_and_b32_e32 v6, 0xff00000, v6
	s_mov_b32 s8, 0x7f00000
	v_mov_b32_e32 v8, 0x7e
	v_cmp_ne_u32_e32 vcc, s8, v6
	s_nop 1
	v_cndmask_b32_e32 v6, v8, v7, vcc
; %bb.676:
	s_andn2_saveexec_b64 s[6:7], s[6:7]
; %bb.677:
	s_mov_b32 s8, 0x46800000
	v_add_f32_e64 v6, |v3|, s8
; %bb.678:
	s_or_b64 exec, exec, s[6:7]
                                        ; implicit-def: $vgpr7
.LBB9_679:
	s_andn2_saveexec_b64 s[4:5], s[4:5]
; %bb.680:
	s_mov_b32 s6, 0x7f800000
	v_mov_b32_e32 v6, 0x7e
	v_mov_b32_e32 v8, 0x7f
	v_cmp_lt_u32_e32 vcc, s6, v7
	s_nop 1
	v_cndmask_b32_e32 v6, v6, v8, vcc
; %bb.681:
	s_or_b64 exec, exec, s[4:5]
	v_lshrrev_b32_e32 v3, 24, v3
	s_movk_i32 s4, 0x80
	v_and_or_b32 v3, v3, s4, v6
	global_store_byte v[4:5], v3, off
.LBB9_682:
	s_mov_b64 s[4:5], 0
.LBB9_683:
	s_andn2_b64 vcc, exec, s[4:5]
	s_cbranch_vccnz .LBB9_693
; %bb.684:
	v_cvt_f32_f64_e32 v3, v[38:39]
	v_and_b32_e32 v7, 0x7fffffff, v3
	s_mov_b32 s4, 0x47800000
	v_cmp_gt_u32_e32 vcc, s4, v7
                                        ; implicit-def: $vgpr6
	s_and_saveexec_b64 s[4:5], vcc
	s_xor_b64 s[4:5], exec, s[4:5]
	s_cbranch_execz .LBB9_690
; %bb.685:
	s_mov_b32 s6, 0x387fffff
	v_cmp_lt_u32_e32 vcc, s6, v7
                                        ; implicit-def: $vgpr6
	s_and_saveexec_b64 s[6:7], vcc
	s_xor_b64 s[6:7], exec, s[6:7]
; %bb.686:
	v_bfe_u32 v6, v3, 21, 1
	s_mov_b32 s8, 0x80fffff
	v_add3_u32 v6, v3, v6, s8
	v_lshrrev_b32_e32 v6, 21, v6
; %bb.687:
	s_andn2_saveexec_b64 s[6:7], s[6:7]
; %bb.688:
	s_mov_b32 s8, 0x43000000
	v_add_f32_e64 v6, |v3|, s8
; %bb.689:
	s_or_b64 exec, exec, s[6:7]
                                        ; implicit-def: $vgpr7
.LBB9_690:
	s_andn2_saveexec_b64 s[4:5], s[4:5]
; %bb.691:
	s_mov_b32 s6, 0x7f800000
	v_mov_b32_e32 v6, 0x7c
	v_mov_b32_e32 v8, 0x7f
	v_cmp_lt_u32_e32 vcc, s6, v7
	s_nop 1
	v_cndmask_b32_e32 v6, v6, v8, vcc
; %bb.692:
	s_or_b64 exec, exec, s[4:5]
	v_lshrrev_b32_e32 v3, 24, v3
	s_movk_i32 s4, 0x80
	v_and_or_b32 v3, v3, s4, v6
	global_store_byte v[4:5], v3, off
.LBB9_693:
	s_mov_b64 s[4:5], 0
	s_mov_b64 s[6:7], -1
.LBB9_694:
	s_andn2_b64 vcc, exec, s[4:5]
	s_mov_b64 s[4:5], 0
	s_cbranch_vccnz .LBB9_701
; %bb.695:
	s_cmp_gt_i32 s14, 14
	s_mov_b64 s[8:9], -1
	s_cbranch_scc0 .LBB9_699
; %bb.696:
	s_cmp_eq_u32 s14, 15
	s_mov_b64 s[0:1], -1
	s_cbranch_scc0 .LBB9_698
; %bb.697:
	v_cvt_f32_f64_e32 v3, v[38:39]
	v_bfe_u32 v6, v3, 16, 1
	s_movk_i32 s0, 0x7fff
	v_add3_u32 v6, v3, v6, s0
	v_cmp_o_f32_e32 vcc, v3, v3
	v_mov_b32_e32 v3, 0x7fc0
	s_mov_b64 s[0:1], 0
	v_cndmask_b32_sdwa v3, v3, v6, vcc dst_sel:DWORD dst_unused:UNUSED_PAD src0_sel:DWORD src1_sel:WORD_1
	global_store_short v[4:5], v3, off
	s_mov_b64 s[6:7], -1
.LBB9_698:
	s_mov_b64 s[8:9], 0
.LBB9_699:
	s_and_b64 vcc, exec, s[8:9]
	s_cbranch_vccz .LBB9_701
; %bb.700:
	s_cmp_lg_u32 s14, 11
	s_mov_b64 s[4:5], -1
	s_cselect_b64 s[0:1], -1, 0
.LBB9_701:
	s_and_b64 vcc, exec, s[0:1]
	s_cbranch_vccnz .LBB9_992
; %bb.702:
	s_andn2_b64 vcc, exec, s[4:5]
	s_cbranch_vccnz .LBB9_704
.LBB9_703:
	v_cmp_neq_f64_e32 vcc, 0, v[38:39]
	s_mov_b64 s[6:7], -1
	s_nop 0
	v_cndmask_b32_e64 v3, 0, 1, vcc
	global_store_byte v[4:5], v3, off
.LBB9_704:
.LBB9_705:
	s_andn2_b64 vcc, exec, s[6:7]
	s_cbranch_vccz .LBB9_745
	s_branch .LBB9_939
.LBB9_706:
	s_mov_b64 s[6:7], 0
	s_cbranch_execz .LBB9_705
; %bb.707:
	s_and_b32 s4, 0xffff, s12
	s_cmp_lt_i32 s4, 5
	s_mov_b64 s[0:1], -1
	s_cbranch_scc1 .LBB9_728
; %bb.708:
	s_cmp_lt_i32 s4, 8
	s_cbranch_scc1 .LBB9_718
; %bb.709:
	s_cmp_lt_i32 s4, 9
	s_cbranch_scc1 .LBB9_715
; %bb.710:
	s_cmp_gt_i32 s4, 9
	s_cbranch_scc0 .LBB9_712
; %bb.711:
	v_mov_b32_e32 v40, 0
	v_mov_b32_e32 v41, v40
	global_store_dwordx4 v[4:5], v[38:41], off
	s_mov_b64 s[0:1], 0
.LBB9_712:
	s_andn2_b64 vcc, exec, s[0:1]
	s_cbranch_vccnz .LBB9_714
; %bb.713:
	v_cvt_f32_f64_e32 v6, v[38:39]
	v_mov_b32_e32 v7, 0
	global_store_dwordx2 v[4:5], v[6:7], off
.LBB9_714:
	s_mov_b64 s[0:1], 0
.LBB9_715:
	s_andn2_b64 vcc, exec, s[0:1]
	s_cbranch_vccnz .LBB9_717
; %bb.716:
	s_movk_i32 s0, 0x1ff
	v_and_or_b32 v3, v39, s0, v38
	v_cmp_ne_u32_e32 vcc, 0, v3
	v_lshrrev_b32_e32 v6, 8, v39
	s_movk_i32 s0, 0xffe
	v_cndmask_b32_e64 v3, 0, 1, vcc
	v_bfe_u32 v7, v39, 20, 11
	v_and_or_b32 v3, v6, s0, v3
	v_sub_u32_e32 v8, 0x3f1, v7
	v_or_b32_e32 v6, 0x1000, v3
	v_med3_i32 v8, v8, 0, 13
	v_lshrrev_b32_e32 v9, v8, v6
	v_lshlrev_b32_e32 v8, v8, v9
	v_cmp_ne_u32_e32 vcc, v8, v6
	v_add_u32_e32 v7, 0xfffffc10, v7
	v_lshl_or_b32 v8, v7, 12, v3
	v_cndmask_b32_e64 v6, 0, 1, vcc
	v_or_b32_e32 v6, v9, v6
	v_cmp_gt_i32_e32 vcc, 1, v7
	s_movk_i32 s0, 0x40f
	s_nop 0
	v_cndmask_b32_e32 v6, v8, v6, vcc
	v_and_b32_e32 v8, 7, v6
	v_cmp_lt_i32_e32 vcc, 5, v8
	v_lshrrev_b32_e32 v6, 2, v6
	s_nop 0
	v_cndmask_b32_e64 v9, 0, 1, vcc
	v_cmp_eq_u32_e32 vcc, 3, v8
	s_nop 1
	v_cndmask_b32_e64 v8, 0, 1, vcc
	v_or_b32_e32 v8, v8, v9
	v_add_u32_e32 v6, v6, v8
	v_mov_b32_e32 v8, 0x7c00
	v_cmp_gt_i32_e32 vcc, 31, v7
	v_mov_b32_e32 v9, 0x7e00
	s_nop 0
	v_cndmask_b32_e32 v6, v8, v6, vcc
	v_cmp_ne_u32_e32 vcc, 0, v3
	s_nop 1
	v_cndmask_b32_e32 v3, v8, v9, vcc
	v_cmp_eq_u32_e32 vcc, s0, v7
	s_mov_b32 s0, 0x8000
	s_nop 0
	v_cndmask_b32_e32 v3, v6, v3, vcc
	v_and_b32_sdwa v6, v39, s0 dst_sel:DWORD dst_unused:UNUSED_PAD src0_sel:WORD_1 src1_sel:DWORD
	s_mov_b32 s0, 0xffff
	v_bitop3_b32 v3, v6, s0, v3 bitop3:0xc8
	global_store_dword v[4:5], v3, off
.LBB9_717:
	s_mov_b64 s[0:1], 0
.LBB9_718:
	s_andn2_b64 vcc, exec, s[0:1]
	s_cbranch_vccnz .LBB9_727
; %bb.719:
	s_cmp_lt_i32 s4, 6
	s_mov_b64 s[0:1], -1
	s_cbranch_scc1 .LBB9_725
; %bb.720:
	s_cmp_gt_i32 s4, 6
	s_cbranch_scc0 .LBB9_722
; %bb.721:
	global_store_dwordx2 v[4:5], v[38:39], off
	s_mov_b64 s[0:1], 0
.LBB9_722:
	s_andn2_b64 vcc, exec, s[0:1]
	s_cbranch_vccnz .LBB9_724
; %bb.723:
	v_cvt_f32_f64_e32 v3, v[38:39]
	global_store_dword v[4:5], v3, off
.LBB9_724:
	s_mov_b64 s[0:1], 0
.LBB9_725:
	s_andn2_b64 vcc, exec, s[0:1]
	s_cbranch_vccnz .LBB9_727
; %bb.726:
	s_movk_i32 s0, 0x1ff
	v_and_or_b32 v3, v39, s0, v38
	v_cmp_ne_u32_e32 vcc, 0, v3
	v_lshrrev_b32_e32 v6, 8, v39
	s_movk_i32 s0, 0xffe
	v_cndmask_b32_e64 v3, 0, 1, vcc
	v_bfe_u32 v7, v39, 20, 11
	v_and_or_b32 v3, v6, s0, v3
	v_sub_u32_e32 v8, 0x3f1, v7
	v_or_b32_e32 v6, 0x1000, v3
	v_med3_i32 v8, v8, 0, 13
	v_lshrrev_b32_e32 v9, v8, v6
	v_lshlrev_b32_e32 v8, v8, v9
	v_cmp_ne_u32_e32 vcc, v8, v6
	v_add_u32_e32 v7, 0xfffffc10, v7
	v_lshl_or_b32 v8, v7, 12, v3
	v_cndmask_b32_e64 v6, 0, 1, vcc
	v_or_b32_e32 v6, v9, v6
	v_cmp_gt_i32_e32 vcc, 1, v7
	s_movk_i32 s0, 0x40f
	s_nop 0
	v_cndmask_b32_e32 v6, v8, v6, vcc
	v_and_b32_e32 v8, 7, v6
	v_cmp_lt_i32_e32 vcc, 5, v8
	v_lshrrev_b32_e32 v6, 2, v6
	s_nop 0
	v_cndmask_b32_e64 v9, 0, 1, vcc
	v_cmp_eq_u32_e32 vcc, 3, v8
	s_nop 1
	v_cndmask_b32_e64 v8, 0, 1, vcc
	v_or_b32_e32 v8, v8, v9
	v_add_u32_e32 v6, v6, v8
	v_mov_b32_e32 v8, 0x7c00
	v_cmp_gt_i32_e32 vcc, 31, v7
	v_mov_b32_e32 v9, 0x7e00
	s_nop 0
	v_cndmask_b32_e32 v6, v8, v6, vcc
	v_cmp_ne_u32_e32 vcc, 0, v3
	s_nop 1
	v_cndmask_b32_e32 v3, v8, v9, vcc
	v_cmp_eq_u32_e32 vcc, s0, v7
	s_mov_b32 s0, 0x8000
	s_nop 0
	v_cndmask_b32_e32 v3, v6, v3, vcc
	v_lshrrev_b32_e32 v6, 16, v39
	v_and_or_b32 v3, v6, s0, v3
	global_store_short v[4:5], v3, off
.LBB9_727:
	s_mov_b64 s[0:1], 0
.LBB9_728:
	s_andn2_b64 vcc, exec, s[0:1]
	s_cbranch_vccnz .LBB9_744
; %bb.729:
	s_cmp_lt_i32 s4, 2
	s_mov_b64 s[0:1], -1
	s_cbranch_scc1 .LBB9_739
; %bb.730:
	s_cmp_lt_i32 s4, 3
	s_cbranch_scc1 .LBB9_736
; %bb.731:
	s_cmp_gt_i32 s4, 3
	s_cbranch_scc0 .LBB9_733
; %bb.732:
	v_trunc_f64_e32 v[6:7], v[38:39]
	s_movk_i32 s0, 0xffe0
	v_ldexp_f64 v[8:9], v[6:7], s0
	v_floor_f64_e32 v[8:9], v[8:9]
	v_fmac_f64_e32 v[6:7], 0xc1f00000, v[8:9]
	v_cvt_i32_f64_e32 v11, v[8:9]
	v_cvt_u32_f64_e32 v10, v[6:7]
	global_store_dwordx2 v[4:5], v[10:11], off
	s_mov_b64 s[0:1], 0
.LBB9_733:
	s_andn2_b64 vcc, exec, s[0:1]
	s_cbranch_vccnz .LBB9_735
; %bb.734:
	v_cvt_i32_f64_e32 v3, v[38:39]
	global_store_dword v[4:5], v3, off
.LBB9_735:
	s_mov_b64 s[0:1], 0
.LBB9_736:
	s_andn2_b64 vcc, exec, s[0:1]
	s_cbranch_vccnz .LBB9_738
; %bb.737:
	v_cvt_i32_f64_e32 v3, v[38:39]
	global_store_short v[4:5], v3, off
.LBB9_738:
	s_mov_b64 s[0:1], 0
.LBB9_739:
	s_andn2_b64 vcc, exec, s[0:1]
	s_cbranch_vccnz .LBB9_744
; %bb.740:
	s_cmp_gt_i32 s4, 0
	s_mov_b64 s[0:1], -1
	s_cbranch_scc0 .LBB9_742
; %bb.741:
	v_cvt_i32_f64_e32 v3, v[38:39]
	global_store_byte v[4:5], v3, off
	s_mov_b64 s[0:1], 0
.LBB9_742:
	s_andn2_b64 vcc, exec, s[0:1]
	s_cbranch_vccnz .LBB9_744
; %bb.743:
	v_trunc_f64_e32 v[6:7], v[38:39]
	s_movk_i32 s0, 0xffe0
	v_ldexp_f64 v[8:9], v[6:7], s0
	v_floor_f64_e32 v[8:9], v[8:9]
	v_fmac_f64_e32 v[6:7], 0xc1f00000, v[8:9]
	v_cvt_u32_f64_e32 v3, v[6:7]
	global_store_byte v[4:5], v3, off
.LBB9_744:
.LBB9_745:
	v_add_u32_e32 v2, s13, v2
	v_ashrrev_i32_e32 v3, 31, v2
	s_cmp_lt_i32 s12, 11
	v_lshl_add_u64 v[4:5], s[36:37], 0, v[2:3]
	s_cbranch_scc1 .LBB9_900
; %bb.746:
	s_and_b32 s14, 0xffff, s12
	s_mov_b64 s[8:9], -1
	s_mov_b64 s[4:5], 0
	s_cmp_gt_i32 s14, 25
	s_mov_b64 s[6:7], 0
	s_mov_b64 s[0:1], 0
	s_cbranch_scc0 .LBB9_779
; %bb.747:
	s_cmp_gt_i32 s14, 28
	s_cbranch_scc0 .LBB9_762
; %bb.748:
	s_cmp_gt_i32 s14, 43
	;; [unrolled: 3-line block ×3, first 2 shown]
	s_cbranch_scc0 .LBB9_752
; %bb.750:
	s_mov_b64 s[0:1], -1
	s_mov_b64 s[8:9], 0
	s_cmp_eq_u32 s14, 46
	s_cbranch_scc0 .LBB9_752
; %bb.751:
	v_cvt_f32_f64_e32 v3, v[36:37]
	v_bfe_u32 v6, v3, 16, 1
	s_movk_i32 s0, 0x7fff
	v_add3_u32 v6, v3, v6, s0
	v_cmp_o_f32_e32 vcc, v3, v3
	v_mov_b32_e32 v3, 0x7fc0
	s_mov_b64 s[0:1], 0
	v_cndmask_b32_sdwa v3, v3, v6, vcc dst_sel:DWORD dst_unused:UNUSED_PAD src0_sel:DWORD src1_sel:WORD_1
	global_store_dword v[4:5], v3, off
	s_mov_b64 s[6:7], -1
.LBB9_752:
	s_and_b64 vcc, exec, s[8:9]
	s_cbranch_vccz .LBB9_757
; %bb.753:
	s_cmp_eq_u32 s14, 44
	s_mov_b64 s[0:1], -1
	s_cbranch_scc0 .LBB9_757
; %bb.754:
	v_cvt_f32_f64_e32 v3, v[36:37]
	v_bfe_u32 v6, v3, 23, 8
	s_movk_i32 s0, 0xff
	v_cmp_ne_u32_e32 vcc, s0, v6
	v_mov_b32_e32 v7, 0xff
	s_and_saveexec_b64 s[6:7], vcc
; %bb.755:
	s_mov_b32 s0, 0x3fffff
	v_lshrrev_b32_e32 v7, 23, v3
	v_and_b32_e32 v8, 0x400000, v3
	v_and_or_b32 v3, v3, s0, v6
	v_cmp_ne_u32_e32 vcc, 0, v8
	v_cmp_ne_u32_e64 s[0:1], 0, v3
	s_and_b64 s[0:1], vcc, s[0:1]
	s_nop 0
	v_cndmask_b32_e64 v3, 0, 1, s[0:1]
	v_add_u32_e32 v7, v7, v3
; %bb.756:
	s_or_b64 exec, exec, s[6:7]
	s_mov_b64 s[0:1], 0
	s_mov_b64 s[6:7], -1
	global_store_byte v[4:5], v7, off
.LBB9_757:
	s_mov_b64 s[8:9], 0
.LBB9_758:
	s_and_b64 vcc, exec, s[8:9]
	s_cbranch_vccz .LBB9_761
; %bb.759:
	s_cmp_eq_u32 s14, 29
	s_mov_b64 s[0:1], -1
	s_cbranch_scc0 .LBB9_761
; %bb.760:
	v_trunc_f64_e32 v[6:7], v[36:37]
	s_movk_i32 s0, 0xffe0
	v_ldexp_f64 v[8:9], v[6:7], s0
	v_floor_f64_e32 v[8:9], v[8:9]
	v_fmac_f64_e32 v[6:7], 0xc1f00000, v[8:9]
	v_cvt_u32_f64_e32 v11, v[8:9]
	v_cvt_u32_f64_e32 v10, v[6:7]
	global_store_dwordx2 v[4:5], v[10:11], off
	s_mov_b64 s[0:1], 0
	s_mov_b64 s[6:7], -1
.LBB9_761:
	s_mov_b64 s[8:9], 0
.LBB9_762:
	s_and_b64 vcc, exec, s[8:9]
	s_cbranch_vccz .LBB9_778
; %bb.763:
	s_cmp_lt_i32 s14, 27
	s_mov_b64 s[6:7], -1
	s_cbranch_scc1 .LBB9_769
; %bb.764:
	s_cmp_gt_i32 s14, 27
	v_cvt_u32_f64_e32 v3, v[36:37]
	s_cbranch_scc0 .LBB9_766
; %bb.765:
	s_mov_b64 s[6:7], 0
	global_store_dword v[4:5], v3, off
.LBB9_766:
	s_andn2_b64 vcc, exec, s[6:7]
	s_cbranch_vccnz .LBB9_768
; %bb.767:
	global_store_short v[4:5], v3, off
.LBB9_768:
	s_mov_b64 s[6:7], 0
.LBB9_769:
	s_andn2_b64 vcc, exec, s[6:7]
	s_cbranch_vccnz .LBB9_777
; %bb.770:
	v_cvt_f32_f64_e32 v3, v[36:37]
	v_and_b32_e32 v6, 0x7fffffff, v3
	s_mov_b32 s6, 0x43800000
	v_cmp_gt_u32_e32 vcc, s6, v6
	v_mov_b32_e32 v7, 0x80
	s_and_saveexec_b64 s[6:7], vcc
	s_cbranch_execz .LBB9_776
; %bb.771:
	s_mov_b32 s8, 0x3bffffff
	v_cmp_lt_u32_e32 vcc, s8, v6
	s_mov_b64 s[8:9], 0
                                        ; implicit-def: $vgpr6
	s_and_saveexec_b64 s[10:11], vcc
	s_xor_b64 s[10:11], exec, s[10:11]
	s_cbranch_execz .LBB9_995
; %bb.772:
	v_bfe_u32 v6, v3, 20, 1
	s_mov_b32 s15, 0x487ffff
	v_add3_u32 v6, v3, v6, s15
	s_mov_b64 s[8:9], exec
	v_lshrrev_b32_e32 v6, 20, v6
	s_andn2_saveexec_b64 s[10:11], s[10:11]
	s_cbranch_execnz .LBB9_996
.LBB9_773:
	s_or_b64 exec, exec, s[10:11]
	v_mov_b32_e32 v7, 0
	s_and_saveexec_b64 s[10:11], s[8:9]
.LBB9_774:
	v_lshrrev_b32_e32 v3, 24, v3
	s_movk_i32 s8, 0x80
	v_and_or_b32 v7, v3, s8, v6
.LBB9_775:
	s_or_b64 exec, exec, s[10:11]
.LBB9_776:
	s_or_b64 exec, exec, s[6:7]
	global_store_byte v[4:5], v7, off
.LBB9_777:
	s_mov_b64 s[6:7], -1
.LBB9_778:
	s_mov_b64 s[8:9], 0
.LBB9_779:
	s_and_b64 vcc, exec, s[8:9]
	s_cbranch_vccz .LBB9_819
; %bb.780:
	s_cmp_gt_i32 s14, 22
	s_mov_b64 s[4:5], -1
	s_cbranch_scc0 .LBB9_812
; %bb.781:
	s_cmp_lt_i32 s14, 24
	s_cbranch_scc1 .LBB9_801
; %bb.782:
	s_cmp_gt_i32 s14, 24
	s_cbranch_scc0 .LBB9_790
; %bb.783:
	v_cvt_f32_f64_e32 v3, v[36:37]
	v_and_b32_e32 v6, 0x7fffffff, v3
	s_mov_b32 s4, 0x47800000
	v_cmp_gt_u32_e32 vcc, s4, v6
	v_mov_b32_e32 v7, 0x80
	s_and_saveexec_b64 s[4:5], vcc
	s_cbranch_execz .LBB9_789
; %bb.784:
	s_mov_b32 s6, 0x37ffffff
	v_cmp_lt_u32_e32 vcc, s6, v6
	s_mov_b64 s[6:7], 0
                                        ; implicit-def: $vgpr6
	s_and_saveexec_b64 s[8:9], vcc
	s_xor_b64 s[8:9], exec, s[8:9]
	s_cbranch_execz .LBB9_1000
; %bb.785:
	v_bfe_u32 v6, v3, 21, 1
	s_mov_b32 s10, 0x88fffff
	v_add3_u32 v6, v3, v6, s10
	s_mov_b64 s[6:7], exec
	v_lshrrev_b32_e32 v6, 21, v6
	s_andn2_saveexec_b64 s[8:9], s[8:9]
	s_cbranch_execnz .LBB9_1001
.LBB9_786:
	s_or_b64 exec, exec, s[8:9]
	v_mov_b32_e32 v7, 0
	s_and_saveexec_b64 s[8:9], s[6:7]
.LBB9_787:
	v_lshrrev_b32_e32 v3, 24, v3
	s_movk_i32 s6, 0x80
	v_and_or_b32 v7, v3, s6, v6
.LBB9_788:
	s_or_b64 exec, exec, s[8:9]
.LBB9_789:
	s_or_b64 exec, exec, s[4:5]
	s_mov_b64 s[4:5], 0
	global_store_byte v[4:5], v7, off
.LBB9_790:
	s_and_b64 vcc, exec, s[4:5]
	s_cbranch_vccz .LBB9_800
; %bb.791:
	v_cvt_f32_f64_e32 v3, v[36:37]
	v_and_b32_e32 v7, 0x7fffffff, v3
	s_mov_b32 s4, 0x43f00000
	v_cmp_gt_u32_e32 vcc, s4, v7
                                        ; implicit-def: $vgpr6
	s_and_saveexec_b64 s[4:5], vcc
	s_xor_b64 s[4:5], exec, s[4:5]
	s_cbranch_execz .LBB9_797
; %bb.792:
	s_mov_b32 s6, 0x3c7fffff
	v_cmp_lt_u32_e32 vcc, s6, v7
                                        ; implicit-def: $vgpr6
	s_and_saveexec_b64 s[6:7], vcc
	s_xor_b64 s[6:7], exec, s[6:7]
; %bb.793:
	v_bfe_u32 v6, v3, 20, 1
	s_mov_b32 s8, 0x407ffff
	v_add3_u32 v6, v3, v6, s8
	v_lshrrev_b32_e32 v7, 20, v6
	v_and_b32_e32 v6, 0xff00000, v6
	s_mov_b32 s8, 0x7f00000
	v_mov_b32_e32 v8, 0x7e
	v_cmp_ne_u32_e32 vcc, s8, v6
	s_nop 1
	v_cndmask_b32_e32 v6, v8, v7, vcc
; %bb.794:
	s_andn2_saveexec_b64 s[6:7], s[6:7]
; %bb.795:
	s_mov_b32 s8, 0x46800000
	v_add_f32_e64 v6, |v3|, s8
; %bb.796:
	s_or_b64 exec, exec, s[6:7]
                                        ; implicit-def: $vgpr7
.LBB9_797:
	s_andn2_saveexec_b64 s[4:5], s[4:5]
; %bb.798:
	s_mov_b32 s6, 0x7f800000
	v_mov_b32_e32 v6, 0x7e
	v_mov_b32_e32 v8, 0x7f
	v_cmp_lt_u32_e32 vcc, s6, v7
	s_nop 1
	v_cndmask_b32_e32 v6, v6, v8, vcc
; %bb.799:
	s_or_b64 exec, exec, s[4:5]
	v_lshrrev_b32_e32 v3, 24, v3
	s_movk_i32 s4, 0x80
	v_and_or_b32 v3, v3, s4, v6
	global_store_byte v[4:5], v3, off
.LBB9_800:
	s_mov_b64 s[4:5], 0
.LBB9_801:
	s_andn2_b64 vcc, exec, s[4:5]
	s_cbranch_vccnz .LBB9_811
; %bb.802:
	v_cvt_f32_f64_e32 v3, v[36:37]
	v_and_b32_e32 v7, 0x7fffffff, v3
	s_mov_b32 s4, 0x47800000
	v_cmp_gt_u32_e32 vcc, s4, v7
                                        ; implicit-def: $vgpr6
	s_and_saveexec_b64 s[4:5], vcc
	s_xor_b64 s[4:5], exec, s[4:5]
	s_cbranch_execz .LBB9_808
; %bb.803:
	s_mov_b32 s6, 0x387fffff
	v_cmp_lt_u32_e32 vcc, s6, v7
                                        ; implicit-def: $vgpr6
	s_and_saveexec_b64 s[6:7], vcc
	s_xor_b64 s[6:7], exec, s[6:7]
; %bb.804:
	v_bfe_u32 v6, v3, 21, 1
	s_mov_b32 s8, 0x80fffff
	v_add3_u32 v6, v3, v6, s8
	v_lshrrev_b32_e32 v6, 21, v6
; %bb.805:
	s_andn2_saveexec_b64 s[6:7], s[6:7]
; %bb.806:
	s_mov_b32 s8, 0x43000000
	v_add_f32_e64 v6, |v3|, s8
; %bb.807:
	s_or_b64 exec, exec, s[6:7]
                                        ; implicit-def: $vgpr7
.LBB9_808:
	s_andn2_saveexec_b64 s[4:5], s[4:5]
; %bb.809:
	s_mov_b32 s6, 0x7f800000
	v_mov_b32_e32 v6, 0x7c
	v_mov_b32_e32 v8, 0x7f
	v_cmp_lt_u32_e32 vcc, s6, v7
	s_nop 1
	v_cndmask_b32_e32 v6, v6, v8, vcc
; %bb.810:
	s_or_b64 exec, exec, s[4:5]
	v_lshrrev_b32_e32 v3, 24, v3
	s_movk_i32 s4, 0x80
	v_and_or_b32 v3, v3, s4, v6
	global_store_byte v[4:5], v3, off
.LBB9_811:
	s_mov_b64 s[4:5], 0
	s_mov_b64 s[6:7], -1
.LBB9_812:
	s_andn2_b64 vcc, exec, s[4:5]
	s_mov_b64 s[4:5], 0
	s_cbranch_vccnz .LBB9_819
; %bb.813:
	s_cmp_gt_i32 s14, 14
	s_mov_b64 s[8:9], -1
	s_cbranch_scc0 .LBB9_817
; %bb.814:
	s_cmp_eq_u32 s14, 15
	s_mov_b64 s[0:1], -1
	s_cbranch_scc0 .LBB9_816
; %bb.815:
	v_cvt_f32_f64_e32 v3, v[36:37]
	v_bfe_u32 v6, v3, 16, 1
	s_movk_i32 s0, 0x7fff
	v_add3_u32 v6, v3, v6, s0
	v_cmp_o_f32_e32 vcc, v3, v3
	v_mov_b32_e32 v3, 0x7fc0
	s_mov_b64 s[0:1], 0
	v_cndmask_b32_sdwa v3, v3, v6, vcc dst_sel:DWORD dst_unused:UNUSED_PAD src0_sel:DWORD src1_sel:WORD_1
	global_store_short v[4:5], v3, off
	s_mov_b64 s[6:7], -1
.LBB9_816:
	s_mov_b64 s[8:9], 0
.LBB9_817:
	s_and_b64 vcc, exec, s[8:9]
	s_cbranch_vccz .LBB9_819
; %bb.818:
	s_cmp_lg_u32 s14, 11
	s_mov_b64 s[4:5], -1
	s_cselect_b64 s[0:1], -1, 0
.LBB9_819:
	s_and_b64 vcc, exec, s[0:1]
	s_cbranch_vccnz .LBB9_997
; %bb.820:
	s_andn2_b64 vcc, exec, s[4:5]
	s_cbranch_vccnz .LBB9_822
.LBB9_821:
	v_cmp_neq_f64_e32 vcc, 0, v[36:37]
	s_mov_b64 s[6:7], -1
	s_nop 0
	v_cndmask_b32_e64 v3, 0, 1, vcc
	global_store_byte v[4:5], v3, off
.LBB9_822:
.LBB9_823:
	s_andn2_b64 vcc, exec, s[6:7]
	s_cbranch_vccnz .LBB9_939
.LBB9_824:
	v_add_u32_e32 v2, s13, v2
	v_ashrrev_i32_e32 v3, 31, v2
	s_cmp_lt_i32 s12, 11
	v_lshl_add_u64 v[4:5], s[36:37], 0, v[2:3]
	s_cbranch_scc1 .LBB9_984
; %bb.825:
	s_and_b32 s13, 0xffff, s12
	s_mov_b64 s[6:7], -1
	s_mov_b64 s[4:5], 0
	s_cmp_gt_i32 s13, 25
	s_mov_b64 s[0:1], 0
	s_cbranch_scc0 .LBB9_858
; %bb.826:
	s_cmp_gt_i32 s13, 28
	s_cbranch_scc0 .LBB9_842
; %bb.827:
	s_cmp_gt_i32 s13, 43
	;; [unrolled: 3-line block ×3, first 2 shown]
	s_cbranch_scc0 .LBB9_832
; %bb.829:
	s_cmp_eq_u32 s13, 46
	s_mov_b64 s[0:1], -1
	s_cbranch_scc0 .LBB9_831
; %bb.830:
	v_cvt_f32_f64_e32 v2, v[0:1]
	v_bfe_u32 v3, v2, 16, 1
	s_movk_i32 s0, 0x7fff
	v_add3_u32 v3, v2, v3, s0
	v_cmp_o_f32_e32 vcc, v2, v2
	v_mov_b32_e32 v2, 0x7fc0
	s_mov_b64 s[0:1], 0
	v_cndmask_b32_sdwa v2, v2, v3, vcc dst_sel:DWORD dst_unused:UNUSED_PAD src0_sel:DWORD src1_sel:WORD_1
	global_store_dword v[4:5], v2, off
.LBB9_831:
	s_mov_b64 s[6:7], 0
.LBB9_832:
	s_and_b64 vcc, exec, s[6:7]
	s_cbranch_vccz .LBB9_837
; %bb.833:
	s_cmp_eq_u32 s13, 44
	s_mov_b64 s[0:1], -1
	s_cbranch_scc0 .LBB9_837
; %bb.834:
	v_cvt_f32_f64_e32 v2, v[0:1]
	v_bfe_u32 v3, v2, 23, 8
	s_movk_i32 s0, 0xff
	v_cmp_ne_u32_e32 vcc, s0, v3
	v_mov_b32_e32 v6, 0xff
	s_and_saveexec_b64 s[6:7], vcc
; %bb.835:
	s_mov_b32 s0, 0x3fffff
	v_lshrrev_b32_e32 v6, 23, v2
	v_and_b32_e32 v7, 0x400000, v2
	v_and_or_b32 v2, v2, s0, v3
	v_cmp_ne_u32_e32 vcc, 0, v7
	v_cmp_ne_u32_e64 s[0:1], 0, v2
	s_and_b64 s[0:1], vcc, s[0:1]
	s_nop 0
	v_cndmask_b32_e64 v2, 0, 1, s[0:1]
	v_add_u32_e32 v6, v6, v2
; %bb.836:
	s_or_b64 exec, exec, s[6:7]
	s_mov_b64 s[0:1], 0
	global_store_byte v[4:5], v6, off
.LBB9_837:
	s_mov_b64 s[6:7], 0
.LBB9_838:
	s_and_b64 vcc, exec, s[6:7]
	s_cbranch_vccz .LBB9_841
; %bb.839:
	s_cmp_eq_u32 s13, 29
	s_mov_b64 s[0:1], -1
	s_cbranch_scc0 .LBB9_841
; %bb.840:
	v_trunc_f64_e32 v[2:3], v[0:1]
	s_movk_i32 s0, 0xffe0
	v_ldexp_f64 v[6:7], v[2:3], s0
	v_floor_f64_e32 v[6:7], v[6:7]
	v_fmac_f64_e32 v[2:3], 0xc1f00000, v[6:7]
	v_cvt_u32_f64_e32 v9, v[6:7]
	v_cvt_u32_f64_e32 v8, v[2:3]
	global_store_dwordx2 v[4:5], v[8:9], off
	s_mov_b64 s[0:1], 0
.LBB9_841:
	s_mov_b64 s[6:7], 0
.LBB9_842:
	s_and_b64 vcc, exec, s[6:7]
	s_cbranch_vccz .LBB9_857
; %bb.843:
	s_cmp_lt_i32 s13, 27
	s_mov_b64 s[6:7], -1
	s_cbranch_scc1 .LBB9_849
; %bb.844:
	s_cmp_gt_i32 s13, 27
	v_cvt_u32_f64_e32 v2, v[0:1]
	s_cbranch_scc0 .LBB9_846
; %bb.845:
	global_store_dword v[4:5], v2, off
	s_mov_b64 s[6:7], 0
.LBB9_846:
	s_andn2_b64 vcc, exec, s[6:7]
	s_cbranch_vccnz .LBB9_848
; %bb.847:
	global_store_short v[4:5], v2, off
.LBB9_848:
	s_mov_b64 s[6:7], 0
.LBB9_849:
	s_andn2_b64 vcc, exec, s[6:7]
	s_cbranch_vccnz .LBB9_857
; %bb.850:
	v_cvt_f32_f64_e32 v2, v[0:1]
	v_and_b32_e32 v3, 0x7fffffff, v2
	s_mov_b32 s6, 0x43800000
	v_cmp_gt_u32_e32 vcc, s6, v3
	v_mov_b32_e32 v6, 0x80
	s_and_saveexec_b64 s[6:7], vcc
	s_cbranch_execz .LBB9_856
; %bb.851:
	s_mov_b32 s8, 0x3bffffff
	v_cmp_lt_u32_e32 vcc, s8, v3
	s_mov_b64 s[8:9], 0
                                        ; implicit-def: $vgpr3
	s_and_saveexec_b64 s[10:11], vcc
	s_xor_b64 s[10:11], exec, s[10:11]
	s_cbranch_execz .LBB9_1002
; %bb.852:
	v_bfe_u32 v3, v2, 20, 1
	s_mov_b32 s14, 0x487ffff
	v_add3_u32 v3, v2, v3, s14
	s_mov_b64 s[8:9], exec
	v_lshrrev_b32_e32 v3, 20, v3
	s_andn2_saveexec_b64 s[10:11], s[10:11]
	s_cbranch_execnz .LBB9_1003
.LBB9_853:
	s_or_b64 exec, exec, s[10:11]
	v_mov_b32_e32 v6, 0
	s_and_saveexec_b64 s[10:11], s[8:9]
.LBB9_854:
	v_lshrrev_b32_e32 v2, 24, v2
	s_movk_i32 s8, 0x80
	v_and_or_b32 v6, v2, s8, v3
.LBB9_855:
	s_or_b64 exec, exec, s[10:11]
.LBB9_856:
	s_or_b64 exec, exec, s[6:7]
	global_store_byte v[4:5], v6, off
.LBB9_857:
	s_mov_b64 s[6:7], 0
.LBB9_858:
	s_and_b64 vcc, exec, s[6:7]
	s_cbranch_vccz .LBB9_898
; %bb.859:
	s_cmp_gt_i32 s13, 22
	s_mov_b64 s[4:5], -1
	s_cbranch_scc0 .LBB9_891
; %bb.860:
	s_cmp_lt_i32 s13, 24
	s_cbranch_scc1 .LBB9_880
; %bb.861:
	s_cmp_gt_i32 s13, 24
	s_cbranch_scc0 .LBB9_869
; %bb.862:
	v_cvt_f32_f64_e32 v2, v[0:1]
	v_and_b32_e32 v3, 0x7fffffff, v2
	s_mov_b32 s4, 0x47800000
	v_cmp_gt_u32_e32 vcc, s4, v3
	v_mov_b32_e32 v6, 0x80
	s_and_saveexec_b64 s[4:5], vcc
	s_cbranch_execz .LBB9_868
; %bb.863:
	s_mov_b32 s6, 0x37ffffff
	v_cmp_lt_u32_e32 vcc, s6, v3
	s_mov_b64 s[6:7], 0
                                        ; implicit-def: $vgpr3
	s_and_saveexec_b64 s[8:9], vcc
	s_xor_b64 s[8:9], exec, s[8:9]
	s_cbranch_execz .LBB9_1009
; %bb.864:
	v_bfe_u32 v3, v2, 21, 1
	s_mov_b32 s10, 0x88fffff
	v_add3_u32 v3, v2, v3, s10
	s_mov_b64 s[6:7], exec
	v_lshrrev_b32_e32 v3, 21, v3
	s_andn2_saveexec_b64 s[8:9], s[8:9]
	s_cbranch_execnz .LBB9_1010
.LBB9_865:
	s_or_b64 exec, exec, s[8:9]
	v_mov_b32_e32 v6, 0
	s_and_saveexec_b64 s[8:9], s[6:7]
.LBB9_866:
	v_lshrrev_b32_e32 v2, 24, v2
	s_movk_i32 s6, 0x80
	v_and_or_b32 v6, v2, s6, v3
.LBB9_867:
	s_or_b64 exec, exec, s[8:9]
.LBB9_868:
	s_or_b64 exec, exec, s[4:5]
	s_mov_b64 s[4:5], 0
	global_store_byte v[4:5], v6, off
.LBB9_869:
	s_and_b64 vcc, exec, s[4:5]
	s_cbranch_vccz .LBB9_879
; %bb.870:
	v_cvt_f32_f64_e32 v2, v[0:1]
	v_and_b32_e32 v6, 0x7fffffff, v2
	s_mov_b32 s4, 0x43f00000
	v_cmp_gt_u32_e32 vcc, s4, v6
                                        ; implicit-def: $vgpr3
	s_and_saveexec_b64 s[4:5], vcc
	s_xor_b64 s[4:5], exec, s[4:5]
	s_cbranch_execz .LBB9_876
; %bb.871:
	s_mov_b32 s6, 0x3c7fffff
	v_cmp_lt_u32_e32 vcc, s6, v6
                                        ; implicit-def: $vgpr3
	s_and_saveexec_b64 s[6:7], vcc
	s_xor_b64 s[6:7], exec, s[6:7]
; %bb.872:
	v_bfe_u32 v3, v2, 20, 1
	s_mov_b32 s8, 0x407ffff
	v_add3_u32 v3, v2, v3, s8
	v_lshrrev_b32_e32 v6, 20, v3
	v_and_b32_e32 v3, 0xff00000, v3
	s_mov_b32 s8, 0x7f00000
	v_mov_b32_e32 v7, 0x7e
	v_cmp_ne_u32_e32 vcc, s8, v3
	s_nop 1
	v_cndmask_b32_e32 v3, v7, v6, vcc
; %bb.873:
	s_andn2_saveexec_b64 s[6:7], s[6:7]
; %bb.874:
	s_mov_b32 s8, 0x46800000
	v_add_f32_e64 v3, |v2|, s8
; %bb.875:
	s_or_b64 exec, exec, s[6:7]
                                        ; implicit-def: $vgpr6
.LBB9_876:
	s_andn2_saveexec_b64 s[4:5], s[4:5]
; %bb.877:
	s_mov_b32 s6, 0x7f800000
	v_mov_b32_e32 v3, 0x7e
	v_mov_b32_e32 v7, 0x7f
	v_cmp_lt_u32_e32 vcc, s6, v6
	s_nop 1
	v_cndmask_b32_e32 v3, v3, v7, vcc
; %bb.878:
	s_or_b64 exec, exec, s[4:5]
	v_lshrrev_b32_e32 v2, 24, v2
	s_movk_i32 s4, 0x80
	v_and_or_b32 v2, v2, s4, v3
	global_store_byte v[4:5], v2, off
.LBB9_879:
	s_mov_b64 s[4:5], 0
.LBB9_880:
	s_andn2_b64 vcc, exec, s[4:5]
	s_cbranch_vccnz .LBB9_890
; %bb.881:
	v_cvt_f32_f64_e32 v2, v[0:1]
	v_and_b32_e32 v6, 0x7fffffff, v2
	s_mov_b32 s4, 0x47800000
	v_cmp_gt_u32_e32 vcc, s4, v6
                                        ; implicit-def: $vgpr3
	s_and_saveexec_b64 s[4:5], vcc
	s_xor_b64 s[4:5], exec, s[4:5]
	s_cbranch_execz .LBB9_887
; %bb.882:
	s_mov_b32 s6, 0x387fffff
	v_cmp_lt_u32_e32 vcc, s6, v6
                                        ; implicit-def: $vgpr3
	s_and_saveexec_b64 s[6:7], vcc
	s_xor_b64 s[6:7], exec, s[6:7]
; %bb.883:
	v_bfe_u32 v3, v2, 21, 1
	s_mov_b32 s8, 0x80fffff
	v_add3_u32 v3, v2, v3, s8
	v_lshrrev_b32_e32 v3, 21, v3
; %bb.884:
	s_andn2_saveexec_b64 s[6:7], s[6:7]
; %bb.885:
	s_mov_b32 s8, 0x43000000
	v_add_f32_e64 v3, |v2|, s8
; %bb.886:
	s_or_b64 exec, exec, s[6:7]
                                        ; implicit-def: $vgpr6
.LBB9_887:
	s_andn2_saveexec_b64 s[4:5], s[4:5]
; %bb.888:
	s_mov_b32 s6, 0x7f800000
	v_mov_b32_e32 v3, 0x7c
	v_mov_b32_e32 v7, 0x7f
	v_cmp_lt_u32_e32 vcc, s6, v6
	s_nop 1
	v_cndmask_b32_e32 v3, v3, v7, vcc
; %bb.889:
	s_or_b64 exec, exec, s[4:5]
	v_lshrrev_b32_e32 v2, 24, v2
	s_movk_i32 s4, 0x80
	v_and_or_b32 v2, v2, s4, v3
	global_store_byte v[4:5], v2, off
.LBB9_890:
	s_mov_b64 s[4:5], 0
.LBB9_891:
	s_andn2_b64 vcc, exec, s[4:5]
	s_mov_b64 s[4:5], 0
	s_cbranch_vccnz .LBB9_898
; %bb.892:
	s_cmp_gt_i32 s13, 14
	s_mov_b64 s[6:7], -1
	s_cbranch_scc0 .LBB9_896
; %bb.893:
	s_cmp_eq_u32 s13, 15
	s_mov_b64 s[0:1], -1
	s_cbranch_scc0 .LBB9_895
; %bb.894:
	v_cvt_f32_f64_e32 v2, v[0:1]
	v_bfe_u32 v3, v2, 16, 1
	s_movk_i32 s0, 0x7fff
	v_add3_u32 v3, v2, v3, s0
	v_cmp_o_f32_e32 vcc, v2, v2
	v_mov_b32_e32 v2, 0x7fc0
	s_mov_b64 s[0:1], 0
	v_cndmask_b32_sdwa v2, v2, v3, vcc dst_sel:DWORD dst_unused:UNUSED_PAD src0_sel:DWORD src1_sel:WORD_1
	global_store_short v[4:5], v2, off
.LBB9_895:
	s_mov_b64 s[6:7], 0
.LBB9_896:
	s_and_b64 vcc, exec, s[6:7]
	s_cbranch_vccz .LBB9_898
; %bb.897:
	s_cmp_lg_u32 s13, 11
	s_mov_b64 s[4:5], -1
	s_cselect_b64 s[0:1], -1, 0
.LBB9_898:
	s_and_b64 vcc, exec, s[0:1]
	s_cbranch_vccnz .LBB9_1004
.LBB9_899:
	s_mov_b64 s[0:1], 0
	s_branch .LBB9_940
.LBB9_900:
	s_mov_b64 s[6:7], 0
	s_cbranch_execz .LBB9_823
; %bb.901:
	s_and_b32 s4, 0xffff, s12
	s_cmp_lt_i32 s4, 5
	s_mov_b64 s[0:1], -1
	s_cbranch_scc1 .LBB9_922
; %bb.902:
	s_cmp_lt_i32 s4, 8
	s_cbranch_scc1 .LBB9_912
; %bb.903:
	s_cmp_lt_i32 s4, 9
	s_cbranch_scc1 .LBB9_909
; %bb.904:
	s_cmp_gt_i32 s4, 9
	s_cbranch_scc0 .LBB9_906
; %bb.905:
	v_mov_b32_e32 v38, 0
	v_mov_b32_e32 v39, v38
	global_store_dwordx4 v[4:5], v[36:39], off
	s_mov_b64 s[0:1], 0
.LBB9_906:
	s_andn2_b64 vcc, exec, s[0:1]
	s_cbranch_vccnz .LBB9_908
; %bb.907:
	v_cvt_f32_f64_e32 v6, v[36:37]
	v_mov_b32_e32 v7, 0
	global_store_dwordx2 v[4:5], v[6:7], off
.LBB9_908:
	s_mov_b64 s[0:1], 0
.LBB9_909:
	s_andn2_b64 vcc, exec, s[0:1]
	s_cbranch_vccnz .LBB9_911
; %bb.910:
	s_movk_i32 s0, 0x1ff
	v_and_or_b32 v3, v37, s0, v36
	v_cmp_ne_u32_e32 vcc, 0, v3
	v_lshrrev_b32_e32 v6, 8, v37
	s_movk_i32 s0, 0xffe
	v_cndmask_b32_e64 v3, 0, 1, vcc
	v_bfe_u32 v7, v37, 20, 11
	v_and_or_b32 v3, v6, s0, v3
	v_sub_u32_e32 v8, 0x3f1, v7
	v_or_b32_e32 v6, 0x1000, v3
	v_med3_i32 v8, v8, 0, 13
	v_lshrrev_b32_e32 v9, v8, v6
	v_lshlrev_b32_e32 v8, v8, v9
	v_cmp_ne_u32_e32 vcc, v8, v6
	v_add_u32_e32 v7, 0xfffffc10, v7
	v_lshl_or_b32 v8, v7, 12, v3
	v_cndmask_b32_e64 v6, 0, 1, vcc
	v_or_b32_e32 v6, v9, v6
	v_cmp_gt_i32_e32 vcc, 1, v7
	s_movk_i32 s0, 0x40f
	s_nop 0
	v_cndmask_b32_e32 v6, v8, v6, vcc
	v_and_b32_e32 v8, 7, v6
	v_cmp_lt_i32_e32 vcc, 5, v8
	v_lshrrev_b32_e32 v6, 2, v6
	s_nop 0
	v_cndmask_b32_e64 v9, 0, 1, vcc
	v_cmp_eq_u32_e32 vcc, 3, v8
	s_nop 1
	v_cndmask_b32_e64 v8, 0, 1, vcc
	v_or_b32_e32 v8, v8, v9
	v_add_u32_e32 v6, v6, v8
	v_mov_b32_e32 v8, 0x7c00
	v_cmp_gt_i32_e32 vcc, 31, v7
	v_mov_b32_e32 v9, 0x7e00
	s_nop 0
	v_cndmask_b32_e32 v6, v8, v6, vcc
	v_cmp_ne_u32_e32 vcc, 0, v3
	s_nop 1
	v_cndmask_b32_e32 v3, v8, v9, vcc
	v_cmp_eq_u32_e32 vcc, s0, v7
	s_mov_b32 s0, 0x8000
	s_nop 0
	v_cndmask_b32_e32 v3, v6, v3, vcc
	v_and_b32_sdwa v6, v37, s0 dst_sel:DWORD dst_unused:UNUSED_PAD src0_sel:WORD_1 src1_sel:DWORD
	s_mov_b32 s0, 0xffff
	v_bitop3_b32 v3, v6, s0, v3 bitop3:0xc8
	global_store_dword v[4:5], v3, off
.LBB9_911:
	s_mov_b64 s[0:1], 0
.LBB9_912:
	s_andn2_b64 vcc, exec, s[0:1]
	s_cbranch_vccnz .LBB9_921
; %bb.913:
	s_cmp_lt_i32 s4, 6
	s_mov_b64 s[0:1], -1
	s_cbranch_scc1 .LBB9_919
; %bb.914:
	s_cmp_gt_i32 s4, 6
	s_cbranch_scc0 .LBB9_916
; %bb.915:
	global_store_dwordx2 v[4:5], v[36:37], off
	s_mov_b64 s[0:1], 0
.LBB9_916:
	s_andn2_b64 vcc, exec, s[0:1]
	s_cbranch_vccnz .LBB9_918
; %bb.917:
	v_cvt_f32_f64_e32 v3, v[36:37]
	global_store_dword v[4:5], v3, off
.LBB9_918:
	s_mov_b64 s[0:1], 0
.LBB9_919:
	s_andn2_b64 vcc, exec, s[0:1]
	s_cbranch_vccnz .LBB9_921
; %bb.920:
	s_movk_i32 s0, 0x1ff
	v_and_or_b32 v3, v37, s0, v36
	v_cmp_ne_u32_e32 vcc, 0, v3
	v_lshrrev_b32_e32 v6, 8, v37
	s_movk_i32 s0, 0xffe
	v_cndmask_b32_e64 v3, 0, 1, vcc
	v_bfe_u32 v7, v37, 20, 11
	v_and_or_b32 v3, v6, s0, v3
	v_sub_u32_e32 v8, 0x3f1, v7
	v_or_b32_e32 v6, 0x1000, v3
	v_med3_i32 v8, v8, 0, 13
	v_lshrrev_b32_e32 v9, v8, v6
	v_lshlrev_b32_e32 v8, v8, v9
	v_cmp_ne_u32_e32 vcc, v8, v6
	v_add_u32_e32 v7, 0xfffffc10, v7
	v_lshl_or_b32 v8, v7, 12, v3
	v_cndmask_b32_e64 v6, 0, 1, vcc
	v_or_b32_e32 v6, v9, v6
	v_cmp_gt_i32_e32 vcc, 1, v7
	s_movk_i32 s0, 0x40f
	s_nop 0
	v_cndmask_b32_e32 v6, v8, v6, vcc
	v_and_b32_e32 v8, 7, v6
	v_cmp_lt_i32_e32 vcc, 5, v8
	v_lshrrev_b32_e32 v6, 2, v6
	s_nop 0
	v_cndmask_b32_e64 v9, 0, 1, vcc
	v_cmp_eq_u32_e32 vcc, 3, v8
	s_nop 1
	v_cndmask_b32_e64 v8, 0, 1, vcc
	v_or_b32_e32 v8, v8, v9
	v_add_u32_e32 v6, v6, v8
	v_mov_b32_e32 v8, 0x7c00
	v_cmp_gt_i32_e32 vcc, 31, v7
	v_mov_b32_e32 v9, 0x7e00
	s_nop 0
	v_cndmask_b32_e32 v6, v8, v6, vcc
	v_cmp_ne_u32_e32 vcc, 0, v3
	s_nop 1
	v_cndmask_b32_e32 v3, v8, v9, vcc
	v_cmp_eq_u32_e32 vcc, s0, v7
	s_mov_b32 s0, 0x8000
	s_nop 0
	v_cndmask_b32_e32 v3, v6, v3, vcc
	v_lshrrev_b32_e32 v6, 16, v37
	v_and_or_b32 v3, v6, s0, v3
	global_store_short v[4:5], v3, off
.LBB9_921:
	s_mov_b64 s[0:1], 0
.LBB9_922:
	s_andn2_b64 vcc, exec, s[0:1]
	s_cbranch_vccnz .LBB9_938
; %bb.923:
	s_cmp_lt_i32 s4, 2
	s_mov_b64 s[0:1], -1
	s_cbranch_scc1 .LBB9_933
; %bb.924:
	s_cmp_lt_i32 s4, 3
	s_cbranch_scc1 .LBB9_930
; %bb.925:
	s_cmp_gt_i32 s4, 3
	s_cbranch_scc0 .LBB9_927
; %bb.926:
	v_trunc_f64_e32 v[6:7], v[36:37]
	s_movk_i32 s0, 0xffe0
	v_ldexp_f64 v[8:9], v[6:7], s0
	v_floor_f64_e32 v[8:9], v[8:9]
	v_fmac_f64_e32 v[6:7], 0xc1f00000, v[8:9]
	v_cvt_i32_f64_e32 v11, v[8:9]
	v_cvt_u32_f64_e32 v10, v[6:7]
	global_store_dwordx2 v[4:5], v[10:11], off
	s_mov_b64 s[0:1], 0
.LBB9_927:
	s_andn2_b64 vcc, exec, s[0:1]
	s_cbranch_vccnz .LBB9_929
; %bb.928:
	v_cvt_i32_f64_e32 v3, v[36:37]
	global_store_dword v[4:5], v3, off
.LBB9_929:
	s_mov_b64 s[0:1], 0
.LBB9_930:
	s_andn2_b64 vcc, exec, s[0:1]
	s_cbranch_vccnz .LBB9_932
; %bb.931:
	v_cvt_i32_f64_e32 v3, v[36:37]
	global_store_short v[4:5], v3, off
.LBB9_932:
	s_mov_b64 s[0:1], 0
.LBB9_933:
	s_andn2_b64 vcc, exec, s[0:1]
	s_cbranch_vccnz .LBB9_938
; %bb.934:
	s_cmp_gt_i32 s4, 0
	s_mov_b64 s[0:1], -1
	s_cbranch_scc0 .LBB9_936
; %bb.935:
	v_cvt_i32_f64_e32 v3, v[36:37]
	global_store_byte v[4:5], v3, off
	s_mov_b64 s[0:1], 0
.LBB9_936:
	s_andn2_b64 vcc, exec, s[0:1]
	s_cbranch_vccnz .LBB9_938
; %bb.937:
	v_trunc_f64_e32 v[6:7], v[36:37]
	s_movk_i32 s0, 0xffe0
	v_ldexp_f64 v[8:9], v[6:7], s0
	v_floor_f64_e32 v[8:9], v[8:9]
	v_fmac_f64_e32 v[6:7], 0xc1f00000, v[8:9]
	v_cvt_u32_f64_e32 v3, v[6:7]
	global_store_byte v[4:5], v3, off
.LBB9_938:
	s_branch .LBB9_824
.LBB9_939:
	s_mov_b64 s[0:1], 0
	s_mov_b64 s[4:5], 0
                                        ; implicit-def: $sgpr12
                                        ; implicit-def: $vgpr4_vgpr5
.LBB9_940:
	s_and_b64 s[34:35], s[4:5], exec
	s_andn2_b64 s[4:5], s[42:43], exec
	s_and_b64 s[2:3], s[2:3], exec
	s_and_b64 s[0:1], s[0:1], exec
	s_or_b64 s[42:43], s[4:5], s[2:3]
.LBB9_941:
	s_or_b64 exec, exec, s[40:41]
	s_and_saveexec_b64 s[2:3], s[42:43]
	s_cbranch_execz .LBB9_944
; %bb.942:
	; divergent unreachable
	s_or_b64 exec, exec, s[2:3]
	s_and_saveexec_b64 s[2:3], s[34:35]
	s_xor_b64 s[2:3], exec, s[2:3]
	s_cbranch_execnz .LBB9_945
.LBB9_943:
	s_or_b64 exec, exec, s[2:3]
	s_and_saveexec_b64 s[2:3], s[0:1]
	s_cbranch_execnz .LBB9_946
	s_branch .LBB9_983
.LBB9_944:
	s_or_b64 exec, exec, s[2:3]
	s_and_saveexec_b64 s[2:3], s[34:35]
	s_xor_b64 s[2:3], exec, s[2:3]
	s_cbranch_execz .LBB9_943
.LBB9_945:
	v_cmp_neq_f64_e32 vcc, 0, v[0:1]
	s_nop 1
	v_cndmask_b32_e64 v2, 0, 1, vcc
	global_store_byte v[4:5], v2, off
	s_or_b64 exec, exec, s[2:3]
	s_and_saveexec_b64 s[2:3], s[0:1]
	s_cbranch_execz .LBB9_983
.LBB9_946:
	s_sext_i32_i16 s2, s12
	s_cmp_lt_i32 s2, 5
	s_mov_b64 s[0:1], -1
	s_cbranch_scc1 .LBB9_967
; %bb.947:
	s_cmp_lt_i32 s2, 8
	s_cbranch_scc1 .LBB9_957
; %bb.948:
	s_cmp_lt_i32 s2, 9
	s_cbranch_scc1 .LBB9_954
; %bb.949:
	s_cmp_gt_i32 s2, 9
	s_cbranch_scc0 .LBB9_951
; %bb.950:
	v_mov_b32_e32 v2, 0
	v_mov_b32_e32 v3, v2
	global_store_dwordx4 v[4:5], v[0:3], off
	s_mov_b64 s[0:1], 0
.LBB9_951:
	s_andn2_b64 vcc, exec, s[0:1]
	s_cbranch_vccnz .LBB9_953
; %bb.952:
	v_cvt_f32_f64_e32 v2, v[0:1]
	v_mov_b32_e32 v3, 0
	global_store_dwordx2 v[4:5], v[2:3], off
.LBB9_953:
	s_mov_b64 s[0:1], 0
.LBB9_954:
	s_andn2_b64 vcc, exec, s[0:1]
	s_cbranch_vccnz .LBB9_956
; %bb.955:
	s_movk_i32 s0, 0x1ff
	v_and_or_b32 v2, v1, s0, v0
	v_cmp_ne_u32_e32 vcc, 0, v2
	v_lshrrev_b32_e32 v3, 8, v1
	s_movk_i32 s0, 0xffe
	v_cndmask_b32_e64 v2, 0, 1, vcc
	v_bfe_u32 v6, v1, 20, 11
	v_and_or_b32 v2, v3, s0, v2
	v_sub_u32_e32 v7, 0x3f1, v6
	v_or_b32_e32 v3, 0x1000, v2
	v_med3_i32 v7, v7, 0, 13
	v_lshrrev_b32_e32 v8, v7, v3
	v_lshlrev_b32_e32 v7, v7, v8
	v_cmp_ne_u32_e32 vcc, v7, v3
	v_add_u32_e32 v6, 0xfffffc10, v6
	v_lshl_or_b32 v7, v6, 12, v2
	v_cndmask_b32_e64 v3, 0, 1, vcc
	v_or_b32_e32 v3, v8, v3
	v_cmp_gt_i32_e32 vcc, 1, v6
	s_movk_i32 s0, 0x40f
	s_nop 0
	v_cndmask_b32_e32 v3, v7, v3, vcc
	v_and_b32_e32 v7, 7, v3
	v_cmp_lt_i32_e32 vcc, 5, v7
	v_lshrrev_b32_e32 v3, 2, v3
	s_nop 0
	v_cndmask_b32_e64 v8, 0, 1, vcc
	v_cmp_eq_u32_e32 vcc, 3, v7
	s_nop 1
	v_cndmask_b32_e64 v7, 0, 1, vcc
	v_or_b32_e32 v7, v7, v8
	v_add_u32_e32 v3, v3, v7
	v_mov_b32_e32 v7, 0x7c00
	v_cmp_gt_i32_e32 vcc, 31, v6
	v_mov_b32_e32 v8, 0x7e00
	s_nop 0
	v_cndmask_b32_e32 v3, v7, v3, vcc
	v_cmp_ne_u32_e32 vcc, 0, v2
	s_nop 1
	v_cndmask_b32_e32 v2, v7, v8, vcc
	v_cmp_eq_u32_e32 vcc, s0, v6
	s_mov_b32 s0, 0x8000
	s_nop 0
	v_cndmask_b32_e32 v2, v3, v2, vcc
	v_and_b32_sdwa v3, v1, s0 dst_sel:DWORD dst_unused:UNUSED_PAD src0_sel:WORD_1 src1_sel:DWORD
	s_mov_b32 s0, 0xffff
	v_bitop3_b32 v2, v3, s0, v2 bitop3:0xc8
	global_store_dword v[4:5], v2, off
.LBB9_956:
	s_mov_b64 s[0:1], 0
.LBB9_957:
	s_andn2_b64 vcc, exec, s[0:1]
	s_cbranch_vccnz .LBB9_966
; %bb.958:
	s_sext_i32_i16 s2, s12
	s_cmp_lt_i32 s2, 6
	s_mov_b64 s[0:1], -1
	s_cbranch_scc1 .LBB9_964
; %bb.959:
	s_cmp_gt_i32 s2, 6
	s_cbranch_scc0 .LBB9_961
; %bb.960:
	global_store_dwordx2 v[4:5], v[0:1], off
	s_mov_b64 s[0:1], 0
.LBB9_961:
	s_andn2_b64 vcc, exec, s[0:1]
	s_cbranch_vccnz .LBB9_963
; %bb.962:
	v_cvt_f32_f64_e32 v2, v[0:1]
	global_store_dword v[4:5], v2, off
.LBB9_963:
	s_mov_b64 s[0:1], 0
.LBB9_964:
	s_andn2_b64 vcc, exec, s[0:1]
	s_cbranch_vccnz .LBB9_966
; %bb.965:
	s_movk_i32 s0, 0x1ff
	v_and_or_b32 v2, v1, s0, v0
	v_cmp_ne_u32_e32 vcc, 0, v2
	v_lshrrev_b32_e32 v3, 8, v1
	s_movk_i32 s0, 0xffe
	v_cndmask_b32_e64 v2, 0, 1, vcc
	v_bfe_u32 v6, v1, 20, 11
	v_and_or_b32 v2, v3, s0, v2
	v_sub_u32_e32 v7, 0x3f1, v6
	v_or_b32_e32 v3, 0x1000, v2
	v_med3_i32 v7, v7, 0, 13
	v_lshrrev_b32_e32 v8, v7, v3
	v_lshlrev_b32_e32 v7, v7, v8
	v_cmp_ne_u32_e32 vcc, v7, v3
	v_add_u32_e32 v6, 0xfffffc10, v6
	v_lshl_or_b32 v7, v6, 12, v2
	v_cndmask_b32_e64 v3, 0, 1, vcc
	v_or_b32_e32 v3, v8, v3
	v_cmp_gt_i32_e32 vcc, 1, v6
	s_movk_i32 s0, 0x40f
	s_nop 0
	v_cndmask_b32_e32 v3, v7, v3, vcc
	v_and_b32_e32 v7, 7, v3
	v_cmp_lt_i32_e32 vcc, 5, v7
	v_lshrrev_b32_e32 v3, 2, v3
	s_nop 0
	v_cndmask_b32_e64 v8, 0, 1, vcc
	v_cmp_eq_u32_e32 vcc, 3, v7
	s_nop 1
	v_cndmask_b32_e64 v7, 0, 1, vcc
	v_or_b32_e32 v7, v7, v8
	v_add_u32_e32 v3, v3, v7
	v_mov_b32_e32 v7, 0x7c00
	v_cmp_gt_i32_e32 vcc, 31, v6
	v_mov_b32_e32 v8, 0x7e00
	s_nop 0
	v_cndmask_b32_e32 v3, v7, v3, vcc
	v_cmp_ne_u32_e32 vcc, 0, v2
	s_nop 1
	v_cndmask_b32_e32 v2, v7, v8, vcc
	v_cmp_eq_u32_e32 vcc, s0, v6
	s_mov_b32 s0, 0x8000
	s_nop 0
	v_cndmask_b32_e32 v2, v3, v2, vcc
	v_lshrrev_b32_e32 v3, 16, v1
	v_and_or_b32 v2, v3, s0, v2
	global_store_short v[4:5], v2, off
.LBB9_966:
	s_mov_b64 s[0:1], 0
.LBB9_967:
	s_andn2_b64 vcc, exec, s[0:1]
	s_cbranch_vccnz .LBB9_983
; %bb.968:
	s_sext_i32_i16 s2, s12
	s_cmp_lt_i32 s2, 2
	s_mov_b64 s[0:1], -1
	s_cbranch_scc1 .LBB9_978
; %bb.969:
	s_cmp_lt_i32 s2, 3
	s_cbranch_scc1 .LBB9_975
; %bb.970:
	s_cmp_gt_i32 s2, 3
	s_cbranch_scc0 .LBB9_972
; %bb.971:
	v_trunc_f64_e32 v[2:3], v[0:1]
	s_movk_i32 s0, 0xffe0
	v_ldexp_f64 v[6:7], v[2:3], s0
	v_floor_f64_e32 v[6:7], v[6:7]
	v_fmac_f64_e32 v[2:3], 0xc1f00000, v[6:7]
	v_cvt_i32_f64_e32 v9, v[6:7]
	v_cvt_u32_f64_e32 v8, v[2:3]
	global_store_dwordx2 v[4:5], v[8:9], off
	s_mov_b64 s[0:1], 0
.LBB9_972:
	s_andn2_b64 vcc, exec, s[0:1]
	s_cbranch_vccnz .LBB9_974
; %bb.973:
	v_cvt_i32_f64_e32 v2, v[0:1]
	global_store_dword v[4:5], v2, off
.LBB9_974:
	s_mov_b64 s[0:1], 0
.LBB9_975:
	s_andn2_b64 vcc, exec, s[0:1]
	s_cbranch_vccnz .LBB9_977
; %bb.976:
	v_cvt_i32_f64_e32 v2, v[0:1]
	global_store_short v[4:5], v2, off
.LBB9_977:
	s_mov_b64 s[0:1], 0
.LBB9_978:
	s_andn2_b64 vcc, exec, s[0:1]
	s_cbranch_vccnz .LBB9_983
; %bb.979:
	s_sext_i32_i16 s0, s12
	s_cmp_gt_i32 s0, 0
	s_mov_b64 s[0:1], -1
	s_cbranch_scc0 .LBB9_981
; %bb.980:
	v_cvt_i32_f64_e32 v2, v[0:1]
	global_store_byte v[4:5], v2, off
	s_mov_b64 s[0:1], 0
.LBB9_981:
	s_andn2_b64 vcc, exec, s[0:1]
	s_cbranch_vccnz .LBB9_983
; %bb.982:
	v_trunc_f64_e32 v[0:1], v[0:1]
	s_movk_i32 s0, 0xffe0
	v_ldexp_f64 v[2:3], v[0:1], s0
	v_floor_f64_e32 v[2:3], v[2:3]
	v_fmac_f64_e32 v[0:1], 0xc1f00000, v[2:3]
	v_cvt_u32_f64_e32 v0, v[0:1]
	global_store_byte v[4:5], v0, off
	s_endpgm
.LBB9_983:
	s_endpgm
.LBB9_984:
	s_mov_b64 s[4:5], 0
	s_mov_b64 s[0:1], -1
	s_branch .LBB9_940
.LBB9_985:
	s_andn2_saveexec_b64 s[8:9], s[8:9]
	s_cbranch_execz .LBB9_537
.LBB9_986:
	s_mov_b32 s11, 0x46000000
	v_add_f32_e64 v6, |v3|, s11
	v_and_b32_e32 v6, 0xff, v6
	v_cmp_ne_u32_e32 vcc, 0, v6
	s_andn2_b64 s[6:7], s[6:7], exec
	s_and_b64 s[14:15], vcc, exec
	s_or_b64 s[6:7], s[6:7], s[14:15]
	s_or_b64 exec, exec, s[8:9]
	v_mov_b32_e32 v7, 0
	s_and_saveexec_b64 s[8:9], s[6:7]
	s_cbranch_execnz .LBB9_538
	s_branch .LBB9_539
.LBB9_987:
	s_or_b64 s[2:3], s[42:43], exec
	s_trap 2
	s_cbranch_execz .LBB9_585
	s_branch .LBB9_586
.LBB9_988:
	s_andn2_saveexec_b64 s[6:7], s[6:7]
	s_cbranch_execz .LBB9_550
.LBB9_989:
	s_mov_b32 s8, 0x42800000
	v_add_f32_e64 v6, |v3|, s8
	v_and_b32_e32 v6, 0xff, v6
	v_cmp_ne_u32_e32 vcc, 0, v6
	s_andn2_b64 s[4:5], s[4:5], exec
	s_and_b64 s[8:9], vcc, exec
	s_or_b64 s[4:5], s[4:5], s[8:9]
	s_or_b64 exec, exec, s[6:7]
	v_mov_b32_e32 v7, 0
	s_and_saveexec_b64 s[6:7], s[4:5]
	s_cbranch_execnz .LBB9_551
	s_branch .LBB9_552
.LBB9_990:
	s_andn2_saveexec_b64 s[10:11], s[10:11]
	s_cbranch_execz .LBB9_655
.LBB9_991:
	s_mov_b32 s15, 0x46000000
	v_add_f32_e64 v6, |v3|, s15
	v_and_b32_e32 v6, 0xff, v6
	v_cmp_ne_u32_e32 vcc, 0, v6
	s_andn2_b64 s[8:9], s[8:9], exec
	s_and_b64 s[16:17], vcc, exec
	s_or_b64 s[8:9], s[8:9], s[16:17]
	s_or_b64 exec, exec, s[10:11]
	v_mov_b32_e32 v7, 0
	s_and_saveexec_b64 s[10:11], s[8:9]
	s_cbranch_execnz .LBB9_656
	s_branch .LBB9_657
.LBB9_992:
	s_trap 2
	s_or_b64 s[2:3], s[2:3], exec
	s_cbranch_execz .LBB9_703
	s_branch .LBB9_704
.LBB9_993:
	s_andn2_saveexec_b64 s[8:9], s[8:9]
	s_cbranch_execz .LBB9_668
.LBB9_994:
	s_mov_b32 s10, 0x42800000
	v_add_f32_e64 v6, |v3|, s10
	v_and_b32_e32 v6, 0xff, v6
	v_cmp_ne_u32_e32 vcc, 0, v6
	s_andn2_b64 s[6:7], s[6:7], exec
	s_and_b64 s[10:11], vcc, exec
	s_or_b64 s[6:7], s[6:7], s[10:11]
	s_or_b64 exec, exec, s[8:9]
	v_mov_b32_e32 v7, 0
	s_and_saveexec_b64 s[8:9], s[6:7]
	s_cbranch_execnz .LBB9_669
	s_branch .LBB9_670
.LBB9_995:
	s_andn2_saveexec_b64 s[10:11], s[10:11]
	s_cbranch_execz .LBB9_773
.LBB9_996:
	s_mov_b32 s15, 0x46000000
	v_add_f32_e64 v6, |v3|, s15
	v_and_b32_e32 v6, 0xff, v6
	v_cmp_ne_u32_e32 vcc, 0, v6
	s_andn2_b64 s[8:9], s[8:9], exec
	s_and_b64 s[16:17], vcc, exec
	s_or_b64 s[8:9], s[8:9], s[16:17]
	s_or_b64 exec, exec, s[10:11]
	v_mov_b32_e32 v7, 0
	s_and_saveexec_b64 s[10:11], s[8:9]
	s_cbranch_execnz .LBB9_774
	s_branch .LBB9_775
.LBB9_997:
	s_trap 2
	s_or_b64 s[2:3], s[2:3], exec
	s_cbranch_execz .LBB9_821
	s_branch .LBB9_822
.LBB9_998:
	s_andn2_saveexec_b64 s[6:7], s[6:7]
	s_cbranch_execz .LBB9_295
.LBB9_999:
	s_mov_b32 s10, 0x46000000
	v_add_f32_e64 v3, |v2|, s10
	v_and_b32_e32 v3, 0xff, v3
	v_cmp_ne_u32_e32 vcc, 0, v3
	s_andn2_b64 s[4:5], s[4:5], exec
	s_and_b64 s[10:11], vcc, exec
	s_or_b64 s[4:5], s[4:5], s[10:11]
	s_or_b64 exec, exec, s[6:7]
	v_mov_b32_e32 v6, 0
	s_and_saveexec_b64 s[6:7], s[4:5]
	s_cbranch_execnz .LBB9_296
	s_branch .LBB9_297
.LBB9_1000:
	s_andn2_saveexec_b64 s[8:9], s[8:9]
	s_cbranch_execz .LBB9_786
.LBB9_1001:
	s_mov_b32 s10, 0x42800000
	v_add_f32_e64 v6, |v3|, s10
	v_and_b32_e32 v6, 0xff, v6
	v_cmp_ne_u32_e32 vcc, 0, v6
	s_andn2_b64 s[6:7], s[6:7], exec
	s_and_b64 s[10:11], vcc, exec
	s_or_b64 s[6:7], s[6:7], s[10:11]
	s_or_b64 exec, exec, s[8:9]
	v_mov_b32_e32 v7, 0
	s_and_saveexec_b64 s[8:9], s[6:7]
	s_cbranch_execnz .LBB9_787
	s_branch .LBB9_788
.LBB9_1002:
	s_andn2_saveexec_b64 s[10:11], s[10:11]
	s_cbranch_execz .LBB9_853
.LBB9_1003:
	s_mov_b32 s14, 0x46000000
	v_add_f32_e64 v3, |v2|, s14
	v_and_b32_e32 v3, 0xff, v3
	v_cmp_ne_u32_e32 vcc, 0, v3
	s_andn2_b64 s[8:9], s[8:9], exec
	s_and_b64 s[14:15], vcc, exec
	s_or_b64 s[8:9], s[8:9], s[14:15]
	s_or_b64 exec, exec, s[10:11]
	v_mov_b32_e32 v6, 0
	s_and_saveexec_b64 s[10:11], s[8:9]
	s_cbranch_execnz .LBB9_854
	s_branch .LBB9_855
.LBB9_1004:
	s_mov_b64 s[4:5], 0
	s_or_b64 s[2:3], s[2:3], exec
	s_trap 2
	s_branch .LBB9_899
.LBB9_1005:
	s_andn2_saveexec_b64 s[6:7], s[6:7]
	s_cbranch_execz .LBB9_308
.LBB9_1006:
	s_mov_b32 s10, 0x42800000
	v_add_f32_e64 v3, |v2|, s10
	v_and_b32_e32 v3, 0xff, v3
	v_cmp_ne_u32_e32 vcc, 0, v3
	s_andn2_b64 s[4:5], s[4:5], exec
	s_and_b64 s[10:11], vcc, exec
	s_or_b64 s[4:5], s[4:5], s[10:11]
	s_or_b64 exec, exec, s[6:7]
	v_mov_b32_e32 v6, 0
	s_and_saveexec_b64 s[6:7], s[4:5]
	s_cbranch_execnz .LBB9_309
	s_branch .LBB9_310
.LBB9_1007:
	s_andn2_saveexec_b64 s[6:7], s[6:7]
	s_cbranch_execz .LBB9_417
.LBB9_1008:
	s_mov_b32 s8, 0x46000000
	v_add_f32_e64 v3, |v2|, s8
	v_and_b32_e32 v3, 0xff, v3
	v_cmp_ne_u32_e32 vcc, 0, v3
	s_andn2_b64 s[4:5], s[4:5], exec
	s_and_b64 s[8:9], vcc, exec
	s_or_b64 s[4:5], s[4:5], s[8:9]
	s_or_b64 exec, exec, s[6:7]
	v_mov_b32_e32 v6, 0
	s_and_saveexec_b64 s[6:7], s[4:5]
	s_cbranch_execnz .LBB9_418
	s_branch .LBB9_419
.LBB9_1009:
	s_andn2_saveexec_b64 s[8:9], s[8:9]
	s_cbranch_execz .LBB9_865
.LBB9_1010:
	s_mov_b32 s10, 0x42800000
	v_add_f32_e64 v3, |v2|, s10
	v_and_b32_e32 v3, 0xff, v3
	v_cmp_ne_u32_e32 vcc, 0, v3
	s_andn2_b64 s[6:7], s[6:7], exec
	s_and_b64 s[10:11], vcc, exec
	s_or_b64 s[6:7], s[6:7], s[10:11]
	s_or_b64 exec, exec, s[8:9]
	v_mov_b32_e32 v6, 0
	s_and_saveexec_b64 s[8:9], s[6:7]
	s_cbranch_execnz .LBB9_866
	s_branch .LBB9_867
.LBB9_1011:
	s_andn2_saveexec_b64 s[8:9], s[8:9]
	s_cbranch_execz .LBB9_429
.LBB9_1012:
	s_mov_b32 s12, 0x42800000
	v_add_f32_e64 v3, |v2|, s12
	v_and_b32_e32 v3, 0xff, v3
	v_cmp_ne_u32_e32 vcc, 0, v3
	s_andn2_b64 s[6:7], s[6:7], exec
	s_and_b64 s[12:13], vcc, exec
	s_or_b64 s[6:7], s[6:7], s[12:13]
	s_or_b64 exec, exec, s[8:9]
	v_mov_b32_e32 v6, 0
	s_and_saveexec_b64 s[8:9], s[6:7]
	s_cbranch_execnz .LBB9_430
	s_branch .LBB9_431
	.section	.rodata,"a",@progbits
	.p2align	6, 0x0
	.amdhsa_kernel _ZN2at6native32elementwise_kernel_manual_unrollILi128ELi4EZNS0_15gpu_kernel_implIZZZNS0_12_GLOBAL__N_121bessel_y1_kernel_cudaERNS_18TensorIteratorBaseEENKUlvE_clEvENKUlvE_clEvEUldE_EEvS5_RKT_EUlibE_EEviT1_
		.amdhsa_group_segment_fixed_size 0
		.amdhsa_private_segment_fixed_size 0
		.amdhsa_kernarg_size 40
		.amdhsa_user_sgpr_count 2
		.amdhsa_user_sgpr_dispatch_ptr 0
		.amdhsa_user_sgpr_queue_ptr 0
		.amdhsa_user_sgpr_kernarg_segment_ptr 1
		.amdhsa_user_sgpr_dispatch_id 0
		.amdhsa_user_sgpr_kernarg_preload_length 0
		.amdhsa_user_sgpr_kernarg_preload_offset 0
		.amdhsa_user_sgpr_private_segment_size 0
		.amdhsa_uses_dynamic_stack 0
		.amdhsa_enable_private_segment 0
		.amdhsa_system_sgpr_workgroup_id_x 1
		.amdhsa_system_sgpr_workgroup_id_y 0
		.amdhsa_system_sgpr_workgroup_id_z 0
		.amdhsa_system_sgpr_workgroup_info 0
		.amdhsa_system_vgpr_workitem_id 0
		.amdhsa_next_free_vgpr 45
		.amdhsa_next_free_sgpr 56
		.amdhsa_accum_offset 48
		.amdhsa_reserve_vcc 1
		.amdhsa_float_round_mode_32 0
		.amdhsa_float_round_mode_16_64 0
		.amdhsa_float_denorm_mode_32 3
		.amdhsa_float_denorm_mode_16_64 3
		.amdhsa_dx10_clamp 1
		.amdhsa_ieee_mode 1
		.amdhsa_fp16_overflow 0
		.amdhsa_tg_split 0
		.amdhsa_exception_fp_ieee_invalid_op 0
		.amdhsa_exception_fp_denorm_src 0
		.amdhsa_exception_fp_ieee_div_zero 0
		.amdhsa_exception_fp_ieee_overflow 0
		.amdhsa_exception_fp_ieee_underflow 0
		.amdhsa_exception_fp_ieee_inexact 0
		.amdhsa_exception_int_div_zero 0
	.end_amdhsa_kernel
	.section	.text._ZN2at6native32elementwise_kernel_manual_unrollILi128ELi4EZNS0_15gpu_kernel_implIZZZNS0_12_GLOBAL__N_121bessel_y1_kernel_cudaERNS_18TensorIteratorBaseEENKUlvE_clEvENKUlvE_clEvEUldE_EEvS5_RKT_EUlibE_EEviT1_,"axG",@progbits,_ZN2at6native32elementwise_kernel_manual_unrollILi128ELi4EZNS0_15gpu_kernel_implIZZZNS0_12_GLOBAL__N_121bessel_y1_kernel_cudaERNS_18TensorIteratorBaseEENKUlvE_clEvENKUlvE_clEvEUldE_EEvS5_RKT_EUlibE_EEviT1_,comdat
.Lfunc_end9:
	.size	_ZN2at6native32elementwise_kernel_manual_unrollILi128ELi4EZNS0_15gpu_kernel_implIZZZNS0_12_GLOBAL__N_121bessel_y1_kernel_cudaERNS_18TensorIteratorBaseEENKUlvE_clEvENKUlvE_clEvEUldE_EEvS5_RKT_EUlibE_EEviT1_, .Lfunc_end9-_ZN2at6native32elementwise_kernel_manual_unrollILi128ELi4EZNS0_15gpu_kernel_implIZZZNS0_12_GLOBAL__N_121bessel_y1_kernel_cudaERNS_18TensorIteratorBaseEENKUlvE_clEvENKUlvE_clEvEUldE_EEvS5_RKT_EUlibE_EEviT1_
                                        ; -- End function
	.set _ZN2at6native32elementwise_kernel_manual_unrollILi128ELi4EZNS0_15gpu_kernel_implIZZZNS0_12_GLOBAL__N_121bessel_y1_kernel_cudaERNS_18TensorIteratorBaseEENKUlvE_clEvENKUlvE_clEvEUldE_EEvS5_RKT_EUlibE_EEviT1_.num_vgpr, max(45, .L_ZN2at6native6invokeIZZZNS0_12_GLOBAL__N_121bessel_y1_kernel_cudaERNS_18TensorIteratorBaseEENKUlvE_clEvENKUlvE_clEvEUldE_i15function_traitsIS7_EEENT1_11result_typeERKT_PrKPcPKT0_PKN3c1010ScalarTypeEi.num_vgpr)
	.set _ZN2at6native32elementwise_kernel_manual_unrollILi128ELi4EZNS0_15gpu_kernel_implIZZZNS0_12_GLOBAL__N_121bessel_y1_kernel_cudaERNS_18TensorIteratorBaseEENKUlvE_clEvENKUlvE_clEvEUldE_EEvS5_RKT_EUlibE_EEviT1_.num_agpr, max(0, .L_ZN2at6native6invokeIZZZNS0_12_GLOBAL__N_121bessel_y1_kernel_cudaERNS_18TensorIteratorBaseEENKUlvE_clEvENKUlvE_clEvEUldE_i15function_traitsIS7_EEENT1_11result_typeERKT_PrKPcPKT0_PKN3c1010ScalarTypeEi.num_agpr)
	.set _ZN2at6native32elementwise_kernel_manual_unrollILi128ELi4EZNS0_15gpu_kernel_implIZZZNS0_12_GLOBAL__N_121bessel_y1_kernel_cudaERNS_18TensorIteratorBaseEENKUlvE_clEvENKUlvE_clEvEUldE_EEvS5_RKT_EUlibE_EEviT1_.numbered_sgpr, max(56, .L_ZN2at6native6invokeIZZZNS0_12_GLOBAL__N_121bessel_y1_kernel_cudaERNS_18TensorIteratorBaseEENKUlvE_clEvENKUlvE_clEvEUldE_i15function_traitsIS7_EEENT1_11result_typeERKT_PrKPcPKT0_PKN3c1010ScalarTypeEi.numbered_sgpr)
	.set _ZN2at6native32elementwise_kernel_manual_unrollILi128ELi4EZNS0_15gpu_kernel_implIZZZNS0_12_GLOBAL__N_121bessel_y1_kernel_cudaERNS_18TensorIteratorBaseEENKUlvE_clEvENKUlvE_clEvEUldE_EEvS5_RKT_EUlibE_EEviT1_.num_named_barrier, max(0, .L_ZN2at6native6invokeIZZZNS0_12_GLOBAL__N_121bessel_y1_kernel_cudaERNS_18TensorIteratorBaseEENKUlvE_clEvENKUlvE_clEvEUldE_i15function_traitsIS7_EEENT1_11result_typeERKT_PrKPcPKT0_PKN3c1010ScalarTypeEi.num_named_barrier)
	.set _ZN2at6native32elementwise_kernel_manual_unrollILi128ELi4EZNS0_15gpu_kernel_implIZZZNS0_12_GLOBAL__N_121bessel_y1_kernel_cudaERNS_18TensorIteratorBaseEENKUlvE_clEvENKUlvE_clEvEUldE_EEvS5_RKT_EUlibE_EEviT1_.private_seg_size, 0+max(.L_ZN2at6native6invokeIZZZNS0_12_GLOBAL__N_121bessel_y1_kernel_cudaERNS_18TensorIteratorBaseEENKUlvE_clEvENKUlvE_clEvEUldE_i15function_traitsIS7_EEENT1_11result_typeERKT_PrKPcPKT0_PKN3c1010ScalarTypeEi.private_seg_size)
	.set _ZN2at6native32elementwise_kernel_manual_unrollILi128ELi4EZNS0_15gpu_kernel_implIZZZNS0_12_GLOBAL__N_121bessel_y1_kernel_cudaERNS_18TensorIteratorBaseEENKUlvE_clEvENKUlvE_clEvEUldE_EEvS5_RKT_EUlibE_EEviT1_.uses_vcc, or(1, .L_ZN2at6native6invokeIZZZNS0_12_GLOBAL__N_121bessel_y1_kernel_cudaERNS_18TensorIteratorBaseEENKUlvE_clEvENKUlvE_clEvEUldE_i15function_traitsIS7_EEENT1_11result_typeERKT_PrKPcPKT0_PKN3c1010ScalarTypeEi.uses_vcc)
	.set _ZN2at6native32elementwise_kernel_manual_unrollILi128ELi4EZNS0_15gpu_kernel_implIZZZNS0_12_GLOBAL__N_121bessel_y1_kernel_cudaERNS_18TensorIteratorBaseEENKUlvE_clEvENKUlvE_clEvEUldE_EEvS5_RKT_EUlibE_EEviT1_.uses_flat_scratch, or(0, .L_ZN2at6native6invokeIZZZNS0_12_GLOBAL__N_121bessel_y1_kernel_cudaERNS_18TensorIteratorBaseEENKUlvE_clEvENKUlvE_clEvEUldE_i15function_traitsIS7_EEENT1_11result_typeERKT_PrKPcPKT0_PKN3c1010ScalarTypeEi.uses_flat_scratch)
	.set _ZN2at6native32elementwise_kernel_manual_unrollILi128ELi4EZNS0_15gpu_kernel_implIZZZNS0_12_GLOBAL__N_121bessel_y1_kernel_cudaERNS_18TensorIteratorBaseEENKUlvE_clEvENKUlvE_clEvEUldE_EEvS5_RKT_EUlibE_EEviT1_.has_dyn_sized_stack, or(0, .L_ZN2at6native6invokeIZZZNS0_12_GLOBAL__N_121bessel_y1_kernel_cudaERNS_18TensorIteratorBaseEENKUlvE_clEvENKUlvE_clEvEUldE_i15function_traitsIS7_EEENT1_11result_typeERKT_PrKPcPKT0_PKN3c1010ScalarTypeEi.has_dyn_sized_stack)
	.set _ZN2at6native32elementwise_kernel_manual_unrollILi128ELi4EZNS0_15gpu_kernel_implIZZZNS0_12_GLOBAL__N_121bessel_y1_kernel_cudaERNS_18TensorIteratorBaseEENKUlvE_clEvENKUlvE_clEvEUldE_EEvS5_RKT_EUlibE_EEviT1_.has_recursion, or(0, .L_ZN2at6native6invokeIZZZNS0_12_GLOBAL__N_121bessel_y1_kernel_cudaERNS_18TensorIteratorBaseEENKUlvE_clEvENKUlvE_clEvEUldE_i15function_traitsIS7_EEENT1_11result_typeERKT_PrKPcPKT0_PKN3c1010ScalarTypeEi.has_recursion)
	.set _ZN2at6native32elementwise_kernel_manual_unrollILi128ELi4EZNS0_15gpu_kernel_implIZZZNS0_12_GLOBAL__N_121bessel_y1_kernel_cudaERNS_18TensorIteratorBaseEENKUlvE_clEvENKUlvE_clEvEUldE_EEvS5_RKT_EUlibE_EEviT1_.has_indirect_call, or(0, .L_ZN2at6native6invokeIZZZNS0_12_GLOBAL__N_121bessel_y1_kernel_cudaERNS_18TensorIteratorBaseEENKUlvE_clEvENKUlvE_clEvEUldE_i15function_traitsIS7_EEENT1_11result_typeERKT_PrKPcPKT0_PKN3c1010ScalarTypeEi.has_indirect_call)
	.section	.AMDGPU.csdata,"",@progbits
; Kernel info:
; codeLenInByte = 20824
; TotalNumSgprs: 62
; NumVgprs: 45
; NumAgprs: 0
; TotalNumVgprs: 45
; ScratchSize: 0
; MemoryBound: 0
; FloatMode: 240
; IeeeMode: 1
; LDSByteSize: 0 bytes/workgroup (compile time only)
; SGPRBlocks: 7
; VGPRBlocks: 5
; NumSGPRsForWavesPerEU: 62
; NumVGPRsForWavesPerEU: 45
; AccumOffset: 48
; Occupancy: 8
; WaveLimiterHint : 0
; COMPUTE_PGM_RSRC2:SCRATCH_EN: 0
; COMPUTE_PGM_RSRC2:USER_SGPR: 2
; COMPUTE_PGM_RSRC2:TRAP_HANDLER: 0
; COMPUTE_PGM_RSRC2:TGID_X_EN: 1
; COMPUTE_PGM_RSRC2:TGID_Y_EN: 0
; COMPUTE_PGM_RSRC2:TGID_Z_EN: 0
; COMPUTE_PGM_RSRC2:TIDIG_COMP_CNT: 0
; COMPUTE_PGM_RSRC3_GFX90A:ACCUM_OFFSET: 11
; COMPUTE_PGM_RSRC3_GFX90A:TG_SPLIT: 0
	.text
	.p2align	2                               ; -- Begin function _ZN2at6native6invokeIZZZNS0_12_GLOBAL__N_121bessel_y1_kernel_cudaERNS_18TensorIteratorBaseEENKUlvE_clEvENKUlvE_clEvEUldE_j15function_traitsIS7_EEENT1_11result_typeERKT_PrKPcPKT0_PKN3c1010ScalarTypeEi
	.type	_ZN2at6native6invokeIZZZNS0_12_GLOBAL__N_121bessel_y1_kernel_cudaERNS_18TensorIteratorBaseEENKUlvE_clEvENKUlvE_clEvEUldE_j15function_traitsIS7_EEENT1_11result_typeERKT_PrKPcPKT0_PKN3c1010ScalarTypeEi,@function
_ZN2at6native6invokeIZZZNS0_12_GLOBAL__N_121bessel_y1_kernel_cudaERNS_18TensorIteratorBaseEENKUlvE_clEvENKUlvE_clEvEUldE_j15function_traitsIS7_EEENT1_11result_typeERKT_PrKPcPKT0_PKN3c1010ScalarTypeEi: ; @_ZN2at6native6invokeIZZZNS0_12_GLOBAL__N_121bessel_y1_kernel_cudaERNS_18TensorIteratorBaseEENKUlvE_clEvENKUlvE_clEvEUldE_j15function_traitsIS7_EEENT1_11result_typeERKT_PrKPcPKT0_PKN3c1010ScalarTypeEi
; %bb.0:
	s_waitcnt vmcnt(0) expcnt(0) lgkmcnt(0)
	v_mov_b32_e32 v4, v3
	v_mov_b32_e32 v3, 0
	v_lshl_add_u64 v[0:1], v[0:1], 0, v[2:3]
	v_mov_b32_e32 v2, 10
	v_cmp_gt_i16_sdwa s[0:1], v4, v2 src0_sel:BYTE_0 src1_sel:DWORD
	s_mov_b64 s[4:5], 0
                                        ; implicit-def: $vgpr2_vgpr3
	s_and_saveexec_b64 s[2:3], s[0:1]
	s_xor_b64 s[0:1], exec, s[2:3]
	s_cbranch_execz .LBB10_51
; %bb.1:
	v_mov_b32_e32 v2, 25
	v_cmp_gt_i16_sdwa s[6:7], v4, v2 src0_sel:BYTE_0 src1_sel:DWORD
	s_mov_b64 s[2:3], 0
	s_mov_b64 s[8:9], 0
                                        ; implicit-def: $vgpr2_vgpr3
	s_and_saveexec_b64 s[10:11], s[6:7]
	s_xor_b64 s[6:7], exec, s[10:11]
	s_cbranch_execz .LBB10_94
; %bb.2:
	v_mov_b32_e32 v2, 28
	v_cmp_gt_i16_sdwa s[4:5], v4, v2 src0_sel:BYTE_0 src1_sel:DWORD
	s_mov_b64 s[10:11], 0
                                        ; implicit-def: $vgpr2_vgpr3
	s_and_saveexec_b64 s[12:13], s[4:5]
	s_xor_b64 s[4:5], exec, s[12:13]
	s_cbranch_execz .LBB10_18
; %bb.3:
	v_mov_b32_e32 v2, 43
	v_cmp_gt_i16_sdwa s[8:9], v4, v2 src0_sel:BYTE_0 src1_sel:DWORD
	s_mov_b64 s[12:13], 0
	s_mov_b64 s[14:15], 0
                                        ; implicit-def: $vgpr2_vgpr3
	s_and_saveexec_b64 s[10:11], s[8:9]
	s_xor_b64 s[8:9], exec, s[10:11]
	s_cbranch_execz .LBB10_13
; %bb.4:
	v_mov_b32_e32 v2, 45
	v_cmp_gt_i16_sdwa s[14:15], v4, v2 src0_sel:BYTE_0 src1_sel:DWORD
	s_mov_b64 s[10:11], 0
                                        ; implicit-def: $vgpr2_vgpr3
	s_and_saveexec_b64 s[16:17], s[14:15]
	s_xor_b64 s[14:15], exec, s[16:17]
	s_cbranch_execz .LBB10_8
; %bb.5:
	v_mov_b32_e32 v2, 46
	v_cmp_eq_u16_sdwa s[18:19], v4, v2 src0_sel:BYTE_0 src1_sel:DWORD
	s_mov_b64 s[16:17], -1
                                        ; implicit-def: $vgpr2_vgpr3
	s_and_saveexec_b64 s[12:13], s[18:19]
	s_cbranch_execz .LBB10_7
; %bb.6:
	flat_load_dword v2, v[0:1]
	s_mov_b64 s[10:11], exec
	s_xor_b64 s[16:17], exec, -1
	s_waitcnt vmcnt(0) lgkmcnt(0)
	v_lshlrev_b32_e32 v2, 16, v2
	v_cvt_f64_f32_e32 v[2:3], v2
.LBB10_7:
	s_or_b64 exec, exec, s[12:13]
	s_and_b64 s[12:13], s[10:11], exec
	s_and_b64 s[10:11], s[16:17], exec
                                        ; implicit-def: $vgpr4
.LBB10_8:
	s_andn2_saveexec_b64 s[14:15], s[14:15]
	s_cbranch_execz .LBB10_12
; %bb.9:
	v_mov_b32_e32 v2, 44
	v_cmp_eq_u16_sdwa s[22:23], v4, v2 src0_sel:BYTE_0 src1_sel:DWORD
	s_mov_b64 s[20:21], -1
	s_mov_b64 s[18:19], s[12:13]
                                        ; implicit-def: $vgpr2_vgpr3
	s_and_saveexec_b64 s[16:17], s[22:23]
	s_cbranch_execz .LBB10_11
; %bb.10:
	flat_load_ubyte v4, v[0:1]
	s_movk_i32 s20, 0xff
	v_bfrev_b32_e32 v5, 4
	v_mov_b32_e32 v6, 0x7ff80000
	v_bfrev_b32_e32 v7, 28
	s_or_b64 s[18:19], s[12:13], exec
	s_waitcnt vmcnt(0) lgkmcnt(0)
	v_lshlrev_b32_e32 v2, 23, v4
	v_cvt_f64_f32_e32 v[2:3], v2
	v_cmp_ne_u32_e32 vcc, s20, v4
	s_xor_b64 s[20:21], exec, -1
	s_nop 0
	v_cndmask_b32_e32 v2, v5, v2, vcc
	v_cndmask_b32_e32 v3, v6, v3, vcc
	v_cmp_ne_u32_e32 vcc, 0, v4
	s_nop 1
	v_cndmask_b32_e32 v3, v7, v3, vcc
	v_cndmask_b32_e32 v2, 0, v2, vcc
.LBB10_11:
	s_or_b64 exec, exec, s[16:17]
	s_andn2_b64 s[12:13], s[12:13], exec
	s_and_b64 s[16:17], s[18:19], exec
	s_or_b64 s[12:13], s[12:13], s[16:17]
	s_andn2_b64 s[10:11], s[10:11], exec
	s_and_b64 s[16:17], s[20:21], exec
	s_or_b64 s[10:11], s[10:11], s[16:17]
.LBB10_12:
	s_or_b64 exec, exec, s[14:15]
	s_and_b64 s[14:15], s[12:13], exec
	s_and_b64 s[12:13], s[10:11], exec
                                        ; implicit-def: $vgpr4
.LBB10_13:
	s_andn2_saveexec_b64 s[8:9], s[8:9]
	s_cbranch_execz .LBB10_17
; %bb.14:
	v_mov_b32_e32 v2, 29
	v_cmp_eq_u16_sdwa s[20:21], v4, v2 src0_sel:BYTE_0 src1_sel:DWORD
	s_mov_b64 s[10:11], -1
	s_mov_b64 s[16:17], s[14:15]
                                        ; implicit-def: $vgpr2_vgpr3
	s_and_saveexec_b64 s[18:19], s[20:21]
	s_cbranch_execz .LBB10_16
; %bb.15:
	flat_load_dwordx2 v[2:3], v[0:1]
	s_or_b64 s[16:17], s[14:15], exec
	s_xor_b64 s[10:11], exec, -1
	s_waitcnt vmcnt(0) lgkmcnt(0)
	v_cvt_f64_u32_e32 v[4:5], v3
	v_cvt_f64_u32_e32 v[2:3], v2
	v_ldexp_f64 v[4:5], v[4:5], 32
	v_add_f64 v[2:3], v[4:5], v[2:3]
.LBB10_16:
	s_or_b64 exec, exec, s[18:19]
	s_andn2_b64 s[14:15], s[14:15], exec
	s_and_b64 s[16:17], s[16:17], exec
	s_andn2_b64 s[12:13], s[12:13], exec
	s_and_b64 s[10:11], s[10:11], exec
	s_or_b64 s[14:15], s[14:15], s[16:17]
	s_or_b64 s[12:13], s[12:13], s[10:11]
.LBB10_17:
	s_or_b64 exec, exec, s[8:9]
	s_and_b64 s[10:11], s[14:15], exec
	s_and_b64 s[8:9], s[12:13], exec
                                        ; implicit-def: $vgpr4
.LBB10_18:
	s_andn2_saveexec_b64 s[4:5], s[4:5]
	s_cbranch_execz .LBB10_36
; %bb.19:
	v_mov_b32_e32 v2, 26
	v_cmp_gt_i16_sdwa s[12:13], v4, v2 src0_sel:BYTE_0 src1_sel:DWORD
                                        ; implicit-def: $vgpr2_vgpr3
	s_and_saveexec_b64 s[14:15], s[12:13]
	s_xor_b64 s[12:13], exec, s[14:15]
	s_cbranch_execz .LBB10_25
; %bb.20:
	v_mov_b32_e32 v2, 27
	v_cmp_gt_i16_sdwa s[14:15], v4, v2 src0_sel:BYTE_0 src1_sel:DWORD
                                        ; implicit-def: $vgpr2_vgpr3
	s_and_saveexec_b64 s[16:17], s[14:15]
	s_xor_b64 s[14:15], exec, s[16:17]
	s_cbranch_execz .LBB10_22
; %bb.21:
	flat_load_dword v2, v[0:1]
	s_waitcnt vmcnt(0) lgkmcnt(0)
	v_cvt_f64_u32_e32 v[2:3], v2
.LBB10_22:
	s_andn2_saveexec_b64 s[14:15], s[14:15]
	s_cbranch_execz .LBB10_24
; %bb.23:
	flat_load_ushort v2, v[0:1]
	s_waitcnt vmcnt(0) lgkmcnt(0)
	v_cvt_f64_u32_e32 v[2:3], v2
.LBB10_24:
	s_or_b64 exec, exec, s[14:15]
.LBB10_25:
	s_andn2_saveexec_b64 s[12:13], s[12:13]
	s_cbranch_execz .LBB10_35
; %bb.26:
	flat_load_ubyte v4, v[0:1]
	s_movk_i32 s14, 0x7f
	s_waitcnt vmcnt(0) lgkmcnt(0)
	v_cmp_lt_i16_e32 vcc, s14, v4
	s_mov_b64 s[14:15], 0
	s_and_saveexec_b64 s[16:17], vcc
	s_xor_b64 s[16:17], exec, s[16:17]
	s_cbranch_execz .LBB10_30
; %bb.27:
	s_movk_i32 s14, 0x80
	v_cmp_eq_u16_e32 vcc, s14, v4
	s_mov_b64 s[14:15], -1
	s_and_saveexec_b64 s[18:19], vcc
; %bb.28:
	s_xor_b64 s[14:15], exec, -1
; %bb.29:
	s_or_b64 exec, exec, s[18:19]
	s_and_b64 s[14:15], s[14:15], exec
.LBB10_30:
	s_or_saveexec_b64 s[16:17], s[16:17]
	v_bfrev_b32_e32 v2, 4
	v_mov_b32_e32 v3, 0x7ff80000
	s_xor_b64 exec, exec, s[16:17]
; %bb.31:
	v_cmp_ne_u16_e32 vcc, 0, v4
	s_andn2_b64 s[14:15], s[14:15], exec
	s_and_b64 s[18:19], vcc, exec
	v_mov_b64_e32 v[2:3], 0
	s_or_b64 s[14:15], s[14:15], s[18:19]
; %bb.32:
	s_or_b64 exec, exec, s[16:17]
	s_and_saveexec_b64 s[16:17], s[14:15]
	s_cbranch_execz .LBB10_34
; %bb.33:
	v_and_b32_e32 v3, 0xffff, v4
	v_lshlrev_b32_e32 v2, 24, v4
	v_and_b32_e32 v4, 7, v3
	v_ffbh_u32_e32 v6, v4
	v_min_u32_e32 v6, 32, v6
	v_subrev_u32_e32 v7, 28, v6
	v_bfe_u32 v5, v3, 3, 4
	v_lshlrev_b32_e32 v3, v7, v3
	v_sub_u32_e32 v6, 29, v6
	v_and_b32_e32 v3, 7, v3
	v_cmp_eq_u32_e32 vcc, 0, v5
	v_and_b32_e32 v2, 0x80000000, v2
	s_nop 0
	v_cndmask_b32_e32 v5, v5, v6, vcc
	v_cndmask_b32_e32 v3, v4, v3, vcc
	v_mov_b32_e32 v4, 0x3b800000
	v_lshlrev_b32_e32 v3, 20, v3
	v_lshl_add_u32 v4, v5, 23, v4
	v_or3_b32 v2, v2, v4, v3
	v_cvt_f64_f32_e32 v[2:3], v2
.LBB10_34:
	s_or_b64 exec, exec, s[16:17]
.LBB10_35:
	s_or_b64 exec, exec, s[12:13]
	s_or_b64 s[10:11], s[10:11], exec
.LBB10_36:
	s_or_b64 exec, exec, s[4:5]
	s_and_b64 s[4:5], s[10:11], exec
	s_and_b64 s[8:9], s[8:9], exec
                                        ; implicit-def: $vgpr4
	s_andn2_saveexec_b64 s[6:7], s[6:7]
	s_cbranch_execnz .LBB10_95
.LBB10_37:
	s_or_b64 exec, exec, s[6:7]
	s_and_saveexec_b64 s[6:7], s[8:9]
	s_cbranch_execnz .LBB10_122
.LBB10_38:
	s_or_b64 exec, exec, s[6:7]
	s_and_saveexec_b64 s[6:7], s[2:3]
	s_xor_b64 s[2:3], exec, s[6:7]
	s_cbranch_execz .LBB10_40
.LBB10_39:
	flat_load_ubyte v0, v[0:1]
	v_mov_b32_e32 v1, 0x3ff00000
	v_mov_b32_e32 v2, 0
	s_or_b64 s[4:5], s[4:5], exec
	s_waitcnt vmcnt(0) lgkmcnt(0)
	v_cmp_ne_u16_e32 vcc, 0, v0
	s_nop 1
	v_cndmask_b32_e32 v3, 0, v1, vcc
.LBB10_40:
	s_or_b64 exec, exec, s[2:3]
	s_and_b64 s[4:5], s[4:5], exec
                                        ; implicit-def: $vgpr4
                                        ; implicit-def: $vgpr0_vgpr1
	s_andn2_saveexec_b64 s[0:1], s[0:1]
	s_cbranch_execnz .LBB10_52
.LBB10_41:
	s_or_b64 exec, exec, s[0:1]
                                        ; implicit-def: $vgpr0_vgpr1
	s_and_saveexec_b64 s[2:3], s[4:5]
	s_cbranch_execz .LBB10_93
.LBB10_42:
	s_mov_b32 s0, 0
	s_mov_b32 s1, 0x40140000
	s_waitcnt vmcnt(0) lgkmcnt(0)
	v_cmp_ge_f64_e32 vcc, s[0:1], v[2:3]
                                        ; implicit-def: $vgpr0_vgpr1
	s_and_saveexec_b64 s[0:1], vcc
	s_xor_b64 s[0:1], exec, s[0:1]
	s_cbranch_execz .LBB10_48
; %bb.43:
	v_mov_b32_e32 v0, 0
	v_cmp_neq_f64_e32 vcc, 0, v[2:3]
	v_mov_b32_e32 v1, 0xfff00000
	s_and_saveexec_b64 s[4:5], vcc
	s_cbranch_execz .LBB10_47
; %bb.44:
	v_mov_b32_e32 v0, 0
	v_cmp_nge_f64_e32 vcc, 0, v[2:3]
	v_mov_b32_e32 v1, 0x7ff80000
	s_and_saveexec_b64 s[6:7], vcc
	s_cbranch_execz .LBB10_46
; %bb.45:
	v_mul_f64 v[0:1], v[2:3], v[2:3]
	v_mov_b32_e32 v4, 0x62f9b6c5
	v_mov_b32_e32 v5, 0x41d2d2be
	v_fmac_f64_e32 v[4:5], 0, v[0:1]
	v_mov_b32_e32 v6, 0x58836521
	v_mov_b32_e32 v7, 0xc262d72d
	v_fmac_f64_e32 v[6:7], v[0:1], v[4:5]
	;; [unrolled: 3-line block ×14, first 2 shown]
	v_div_scale_f64 v[4:5], s[8:9], v[8:9], v[8:9], v[6:7]
	v_rcp_f64_e32 v[10:11], v[4:5]
	v_mov_b32_e32 v16, 0xd438c6b
	v_mov_b32_e32 v17, 0x425a52ba
	;; [unrolled: 1-line block ×3, first 2 shown]
	v_fma_f64 v[12:13], -v[4:5], v[10:11], 1.0
	v_fmac_f64_e32 v[10:11], v[10:11], v[12:13]
	v_fma_f64 v[12:13], -v[4:5], v[10:11], 1.0
	v_fmac_f64_e32 v[10:11], v[10:11], v[12:13]
	v_div_scale_f64 v[12:13], vcc, v[6:7], v[8:9], v[6:7]
	v_mul_f64 v[14:15], v[12:13], v[10:11]
	v_fma_f64 v[4:5], -v[4:5], v[14:15], v[12:13]
	v_mov_b32_e32 v12, 0x4cda4fc5
	v_mov_b32_e32 v13, 0xc1cad23c
	v_fmac_f64_e32 v[12:13], 0, v[0:1]
	v_fmac_f64_e32 v[16:17], v[0:1], v[12:13]
	v_mov_b32_e32 v12, 0xe6ccf175
	v_mov_b32_e32 v13, 0xc2d08a92
	v_fmac_f64_e32 v[12:13], v[0:1], v[16:17]
	v_mov_b32_e32 v16, 0x1b7086e7
	v_mov_b32_e32 v17, 0x408366b1
	v_fmac_f64_e32 v[16:17], 0, v[0:1]
	v_mov_b32_e32 v19, 0x410f5eda
	v_fmac_f64_e32 v[18:19], v[0:1], v[16:17]
	v_mov_b32_e32 v16, 0xdc92a1b1
	v_mov_b32_e32 v17, 0x4193e954
	v_fmac_f64_e32 v[16:17], v[0:1], v[18:19]
	v_mov_b32_e32 v18, 0x7befeac1
	;; [unrolled: 3-line block ×7, first 2 shown]
	v_mov_b32_e32 v17, 0x432a2b42
	v_fmac_f64_e32 v[16:17], v[0:1], v[12:13]
	v_div_scale_f64 v[0:1], s[8:9], v[18:19], v[18:19], v[16:17]
	v_rcp_f64_e32 v[12:13], v[0:1]
	v_div_fmas_f64 v[4:5], v[4:5], v[10:11], v[14:15]
	v_div_fixup_f64 v[4:5], v[4:5], v[8:9], v[6:7]
	s_mov_b32 s8, 0x55555555
	v_fma_f64 v[6:7], -v[0:1], v[12:13], 1.0
	v_fmac_f64_e32 v[12:13], v[12:13], v[6:7]
	v_fma_f64 v[6:7], -v[0:1], v[12:13], 1.0
	v_fmac_f64_e32 v[12:13], v[12:13], v[6:7]
	v_div_scale_f64 v[6:7], vcc, v[16:17], v[18:19], v[16:17]
	v_mul_f64 v[8:9], v[6:7], v[12:13]
	v_fma_f64 v[0:1], -v[0:1], v[8:9], v[6:7]
	v_mov_b32_e32 v6, 0x4189822c
	s_nop 0
	v_div_fmas_f64 v[0:1], v[0:1], v[12:13], v[8:9]
	v_div_fixup_f64 v[0:1], v[0:1], v[18:19], v[16:17]
	v_mov_b32_e32 v7, 0xc02d5d2b
	v_mul_f64 v[0:1], v[2:3], v[0:1]
	v_fmac_f64_e32 v[6:7], v[2:3], v[2:3]
	v_mul_f64 v[0:1], v[6:7], v[0:1]
	v_mov_b32_e32 v6, 0x6072a432
	v_mov_b32_e32 v7, 0xc0489bf6
	v_fmac_f64_e32 v[6:7], v[2:3], v[2:3]
	v_mul_f64 v[0:1], v[6:7], v[0:1]
	v_frexp_mant_f64_e32 v[6:7], v[2:3]
	s_mov_b32 s9, 0x3fe55555
	v_cmp_gt_f64_e32 vcc, s[8:9], v[6:7]
	v_frexp_exp_i32_f64_e32 v8, v[2:3]
	s_mov_b32 s8, 0xbf559e2b
	v_cndmask_b32_e64 v9, 0, 1, vcc
	v_ldexp_f64 v[6:7], v[6:7], v9
	v_subbrev_co_u32_e32 v20, vcc, 0, v8, vcc
	v_add_f64 v[8:9], v[6:7], 1.0
	v_rcp_f64_e32 v[10:11], v[8:9]
	v_add_f64 v[14:15], v[8:9], -1.0
	v_add_f64 v[12:13], v[6:7], -1.0
	v_add_f64 v[6:7], v[6:7], -v[14:15]
	v_fma_f64 v[14:15], -v[8:9], v[10:11], 1.0
	v_fmac_f64_e32 v[10:11], v[14:15], v[10:11]
	v_fma_f64 v[14:15], -v[8:9], v[10:11], 1.0
	v_fmac_f64_e32 v[10:11], v[14:15], v[10:11]
	v_mul_f64 v[14:15], v[12:13], v[10:11]
	v_mul_f64 v[16:17], v[8:9], v[14:15]
	v_fma_f64 v[8:9], v[14:15], v[8:9], -v[16:17]
	v_fmac_f64_e32 v[8:9], v[14:15], v[6:7]
	v_add_f64 v[6:7], v[16:17], v[8:9]
	v_add_f64 v[18:19], v[12:13], -v[6:7]
	v_add_f64 v[16:17], v[6:7], -v[16:17]
	;; [unrolled: 1-line block ×5, first 2 shown]
	v_add_f64 v[6:7], v[8:9], v[6:7]
	v_add_f64 v[6:7], v[18:19], v[6:7]
	v_mul_f64 v[6:7], v[10:11], v[6:7]
	v_add_f64 v[8:9], v[14:15], v[6:7]
	v_add_f64 v[10:11], v[8:9], -v[14:15]
	v_add_f64 v[6:7], v[6:7], -v[10:11]
	v_mul_f64 v[10:11], v[8:9], v[8:9]
	v_mov_b32_e32 v12, 0x6b47b09a
	v_mov_b32_e32 v13, 0x3fc38538
	s_mov_b32 s9, 0x3fc3ab76
	v_fmac_f64_e32 v[12:13], s[8:9], v[10:11]
	v_mov_b32_e32 v14, 0xd7f4df2e
	v_mov_b32_e32 v15, 0x3fc7474d
	v_fmac_f64_e32 v[14:15], v[10:11], v[12:13]
	v_mov_b32_e32 v12, 0x16291751
	v_mov_b32_e32 v13, 0x3fcc71c0
	v_fmac_f64_e32 v[12:13], v[10:11], v[14:15]
	v_mov_b32_e32 v14, 0x9b27acf1
	v_mov_b32_e32 v15, 0x3fd24924
	v_fmac_f64_e32 v[14:15], v[10:11], v[12:13]
	v_mov_b32_e32 v12, 0x998ef7b6
	v_mov_b32_e32 v13, 0x3fd99999
	v_fmac_f64_e32 v[12:13], v[10:11], v[14:15]
	v_mov_b32_e32 v14, 0x55555780
	v_mov_b32_e32 v15, 0x3fe55555
	v_fmac_f64_e32 v[14:15], v[10:11], v[12:13]
	v_ldexp_f64 v[12:13], v[8:9], 1
	v_mul_f64 v[8:9], v[8:9], v[10:11]
	v_mul_f64 v[8:9], v[8:9], v[14:15]
	v_add_f64 v[10:11], v[12:13], v[8:9]
	v_add_f64 v[12:13], v[10:11], -v[12:13]
	v_ldexp_f64 v[6:7], v[6:7], 1
	v_add_f64 v[8:9], v[8:9], -v[12:13]
	v_add_f64 v[6:7], v[6:7], v[8:9]
	v_add_f64 v[8:9], v[10:11], v[6:7]
	v_add_f64 v[10:11], v[8:9], -v[10:11]
	s_mov_b32 s8, 0xfefa39ef
	v_add_f64 v[6:7], v[6:7], -v[10:11]
	v_cvt_f64_i32_e32 v[10:11], v20
	s_mov_b32 s9, 0x3fe62e42
	v_mul_f64 v[12:13], v[10:11], s[8:9]
	v_fma_f64 v[14:15], v[10:11], s[8:9], -v[12:13]
	s_mov_b32 s8, 0x3b39803f
	s_mov_b32 s9, 0x3c7abc9e
	v_fmac_f64_e32 v[14:15], s[8:9], v[10:11]
	v_add_f64 v[10:11], v[12:13], v[14:15]
	v_add_f64 v[12:13], v[10:11], -v[12:13]
	v_add_f64 v[12:13], v[14:15], -v[12:13]
	v_add_f64 v[14:15], v[10:11], v[8:9]
	v_add_f64 v[16:17], v[14:15], -v[10:11]
	v_add_f64 v[18:19], v[14:15], -v[16:17]
	;; [unrolled: 1-line block ×4, first 2 shown]
	v_add_f64 v[8:9], v[8:9], v[10:11]
	v_add_f64 v[10:11], v[12:13], v[6:7]
	v_add_f64 v[16:17], v[10:11], -v[12:13]
	v_add_f64 v[18:19], v[10:11], -v[16:17]
	v_add_f64 v[8:9], v[10:11], v[8:9]
	v_add_f64 v[12:13], v[12:13], -v[18:19]
	v_add_f64 v[6:7], v[6:7], -v[16:17]
	v_add_f64 v[10:11], v[14:15], v[8:9]
	v_add_f64 v[6:7], v[6:7], v[12:13]
	v_add_f64 v[12:13], v[10:11], -v[14:15]
	v_div_scale_f64 v[14:15], s[8:9], v[2:3], v[2:3], -1.0
	v_rcp_f64_e32 v[16:17], v[14:15]
	v_add_f64 v[8:9], v[8:9], -v[12:13]
	v_add_f64 v[6:7], v[6:7], v[8:9]
	v_add_f64 v[6:7], v[10:11], v[6:7]
	v_fma_f64 v[8:9], -v[14:15], v[16:17], 1.0
	v_fmac_f64_e32 v[16:17], v[16:17], v[8:9]
	v_fma_f64 v[8:9], -v[14:15], v[16:17], 1.0
	v_fmac_f64_e32 v[16:17], v[16:17], v[8:9]
	v_div_scale_f64 v[8:9], vcc, -1.0, v[2:3], -1.0
	v_mul_f64 v[10:11], v[8:9], v[16:17]
	v_fma_f64 v[8:9], -v[14:15], v[10:11], v[8:9]
	s_mov_b32 s8, 0x6dc9c883
	s_nop 0
	v_div_fmas_f64 v[8:9], v[8:9], v[16:17], v[10:11]
	v_div_fixup_f64 v[8:9], v[8:9], v[2:3], -1.0
	v_fmac_f64_e32 v[8:9], v[0:1], v[6:7]
	s_mov_b32 s9, 0x3fe45f30
	v_mul_f64 v[0:1], v[8:9], s[8:9]
	v_fmac_f64_e32 v[0:1], v[2:3], v[4:5]
.LBB10_46:
	s_or_b64 exec, exec, s[6:7]
.LBB10_47:
	s_or_b64 exec, exec, s[4:5]
                                        ; implicit-def: $vgpr2_vgpr3
.LBB10_48:
	s_andn2_saveexec_b64 s[4:5], s[0:1]
	s_cbranch_execz .LBB10_130
; %bb.49:
	s_mov_b32 s0, 0x7f3321d2
	s_mov_b32 s1, 0xc002d97c
	v_add_f64 v[0:1], v[2:3], s[0:1]
	s_mov_b32 s0, 0
	s_mov_b32 s1, 0x41d00000
	v_cmp_nlt_f64_e64 s[6:7], |v[0:1]|, s[0:1]
	v_trig_preop_f64 v[16:17], |v[0:1]|, 0
	v_trig_preop_f64 v[14:15], |v[0:1]|, 1
	;; [unrolled: 1-line block ×3, first 2 shown]
                                        ; implicit-def: $vgpr20
                                        ; implicit-def: $vgpr4_vgpr5
                                        ; implicit-def: $vgpr6_vgpr7
	s_and_saveexec_b64 s[0:1], s[6:7]
	s_xor_b64 s[8:9], exec, s[0:1]
	s_cbranch_execz .LBB10_123
; %bb.50:
	s_mov_b32 s0, 0
	s_mov_b32 s1, 0x7b000000
	s_movk_i32 s10, 0xff80
	v_and_b32_e32 v6, 0x7fffffff, v1
	v_ldexp_f64 v[4:5], |v[0:1]|, s10
	v_cmp_ge_f64_e64 vcc, |v[0:1]|, s[0:1]
	s_mov_b32 s0, 0
	s_mov_b32 s1, 0x7ff00000
	v_cndmask_b32_e32 v5, v6, v5, vcc
	v_cndmask_b32_e32 v4, v0, v4, vcc
	v_mul_f64 v[8:9], v[16:17], v[4:5]
	v_mul_f64 v[6:7], v[14:15], v[4:5]
	v_fma_f64 v[10:11], v[16:17], v[4:5], -v[8:9]
	v_add_f64 v[18:19], v[6:7], v[10:11]
	v_add_f64 v[26:27], v[18:19], -v[6:7]
	v_add_f64 v[10:11], v[10:11], -v[26:27]
	;; [unrolled: 1-line block ×4, first 2 shown]
	v_add_f64 v[10:11], v[10:11], v[26:27]
	v_fma_f64 v[6:7], v[14:15], v[4:5], -v[6:7]
	v_mul_f64 v[26:27], v[12:13], v[4:5]
	v_add_f64 v[28:29], v[26:27], v[6:7]
	v_add_f64 v[20:21], v[8:9], v[18:19]
	;; [unrolled: 1-line block ×3, first 2 shown]
	v_ldexp_f64 v[22:23], v[20:21], -2
	v_add_f64 v[8:9], v[20:21], -v[8:9]
	v_add_f64 v[20:21], v[30:31], -v[28:29]
	;; [unrolled: 1-line block ×5, first 2 shown]
	v_add_f64 v[10:11], v[10:11], v[20:21]
	v_add_f64 v[20:21], v[28:29], -v[26:27]
	v_add_f64 v[6:7], v[6:7], -v[20:21]
	v_add_f64 v[20:21], v[28:29], -v[20:21]
	v_add_f64 v[20:21], v[26:27], -v[20:21]
	v_add_f64 v[8:9], v[18:19], -v[8:9]
	v_add_f64 v[6:7], v[6:7], v[20:21]
	v_fract_f64_e32 v[24:25], v[22:23]
	v_add_f64 v[18:19], v[8:9], v[30:31]
	v_add_f64 v[6:7], v[6:7], v[10:11]
	v_fma_f64 v[4:5], v[12:13], v[4:5], -v[26:27]
	v_add_f64 v[8:9], v[18:19], -v[8:9]
	v_add_f64 v[4:5], v[4:5], v[6:7]
	v_ldexp_f64 v[6:7], v[24:25], 2
	v_cmp_neq_f64_e64 vcc, |v[22:23]|, s[0:1]
	v_add_f64 v[8:9], v[30:31], -v[8:9]
	v_add_f64 v[4:5], v[8:9], v[4:5]
	v_cndmask_b32_e32 v7, 0, v7, vcc
	v_cndmask_b32_e32 v6, 0, v6, vcc
	v_add_f64 v[8:9], v[18:19], v[6:7]
	v_mov_b32_e32 v10, 0x40100000
	v_cmp_gt_f64_e32 vcc, 0, v[8:9]
	v_mov_b32_e32 v8, 0
	s_mov_b32 s10, 0x33145c07
	v_cndmask_b32_e32 v9, 0, v10, vcc
	v_add_f64 v[6:7], v[6:7], v[8:9]
	v_add_f64 v[10:11], v[18:19], v[6:7]
	v_cvt_i32_f64_e32 v9, v[10:11]
	v_cvt_f64_i32_e32 v[10:11], v9
	v_add_f64 v[6:7], v[6:7], -v[10:11]
	v_add_f64 v[10:11], v[18:19], v[6:7]
	v_add_f64 v[6:7], v[10:11], -v[6:7]
	v_add_f64 v[6:7], v[18:19], -v[6:7]
	v_add_f64 v[4:5], v[4:5], v[6:7]
	v_cmp_le_f64_e32 vcc, 0.5, v[10:11]
	v_mov_b32_e32 v6, 0x3ff00000
	s_mov_b32 s11, 0x3c91a626
	v_addc_co_u32_e64 v20, s[0:1], 0, v9, vcc
	v_cndmask_b32_e32 v9, 0, v6, vcc
	v_add_f64 v[6:7], v[10:11], -v[8:9]
	v_add_f64 v[8:9], v[6:7], v[4:5]
	s_mov_b32 s0, 0x54442d18
	v_add_f64 v[6:7], v[8:9], -v[6:7]
	s_mov_b32 s1, 0x3ff921fb
	v_add_f64 v[4:5], v[4:5], -v[6:7]
	v_mul_f64 v[6:7], v[8:9], s[0:1]
	v_fma_f64 v[10:11], v[8:9], s[0:1], -v[6:7]
	v_fmac_f64_e32 v[10:11], s[10:11], v[8:9]
	v_fmac_f64_e32 v[10:11], s[0:1], v[4:5]
	v_add_f64 v[4:5], v[6:7], v[10:11]
	v_add_f64 v[6:7], v[4:5], -v[6:7]
	v_add_f64 v[6:7], v[10:11], -v[6:7]
	s_andn2_saveexec_b64 s[0:1], s[8:9]
	s_cbranch_execz .LBB10_125
	s_branch .LBB10_124
.LBB10_51:
	s_andn2_saveexec_b64 s[0:1], s[0:1]
	s_cbranch_execz .LBB10_41
.LBB10_52:
	v_mov_b32_e32 v2, 4
	v_cmp_gt_i16_sdwa s[2:3], v4, v2 src0_sel:BYTE_0 src1_sel:DWORD
                                        ; implicit-def: $vgpr2_vgpr3
	s_and_saveexec_b64 s[6:7], s[2:3]
	s_xor_b64 s[2:3], exec, s[6:7]
	s_cbranch_execz .LBB10_74
; %bb.53:
	v_mov_b32_e32 v2, 7
	v_cmp_gt_i16_sdwa s[6:7], v4, v2 src0_sel:BYTE_0 src1_sel:DWORD
                                        ; implicit-def: $vgpr2_vgpr3
	s_and_saveexec_b64 s[8:9], s[6:7]
	s_xor_b64 s[6:7], exec, s[8:9]
	s_cbranch_execz .LBB10_63
; %bb.54:
	;; [unrolled: 7-line block ×4, first 2 shown]
	flat_load_dwordx2 v[2:3], v[0:1]
                                        ; implicit-def: $vgpr0_vgpr1
.LBB10_57:
	s_andn2_saveexec_b64 s[10:11], s[10:11]
	s_cbranch_execz .LBB10_59
; %bb.58:
	flat_load_dword v0, v[0:1]
	s_waitcnt vmcnt(0) lgkmcnt(0)
	v_cvt_f64_f32_e32 v[2:3], v0
.LBB10_59:
	s_or_b64 exec, exec, s[10:11]
                                        ; implicit-def: $vgpr0_vgpr1
.LBB10_60:
	s_andn2_saveexec_b64 s[8:9], s[8:9]
	s_cbranch_execz .LBB10_62
; %bb.61:
	flat_load_dword v0, v[0:1]
	s_waitcnt vmcnt(0) lgkmcnt(0)
	v_cvt_f32_f16_e32 v0, v0
	v_cvt_f64_f32_e32 v[2:3], v0
.LBB10_62:
	s_or_b64 exec, exec, s[8:9]
                                        ; implicit-def: $vgpr0_vgpr1
                                        ; implicit-def: $vgpr4
.LBB10_63:
	s_andn2_saveexec_b64 s[6:7], s[6:7]
	s_cbranch_execz .LBB10_73
; %bb.64:
	s_waitcnt vmcnt(0) lgkmcnt(0)
	v_mov_b32_e32 v2, 5
	v_cmp_gt_i16_sdwa s[8:9], v4, v2 src0_sel:BYTE_0 src1_sel:DWORD
                                        ; implicit-def: $vgpr2_vgpr3
	s_and_saveexec_b64 s[10:11], s[8:9]
	s_xor_b64 s[8:9], exec, s[10:11]
	s_cbranch_execz .LBB10_70
; %bb.65:
	v_mov_b32_e32 v2, 6
	v_cmp_gt_i16_sdwa s[10:11], v4, v2 src0_sel:BYTE_0 src1_sel:DWORD
                                        ; implicit-def: $vgpr2_vgpr3
	s_and_saveexec_b64 s[12:13], s[10:11]
	s_xor_b64 s[10:11], exec, s[12:13]
	s_cbranch_execz .LBB10_67
; %bb.66:
	flat_load_dwordx2 v[2:3], v[0:1]
                                        ; implicit-def: $vgpr0_vgpr1
.LBB10_67:
	s_andn2_saveexec_b64 s[10:11], s[10:11]
	s_cbranch_execz .LBB10_69
; %bb.68:
	flat_load_dword v0, v[0:1]
	s_waitcnt vmcnt(0) lgkmcnt(0)
	v_cvt_f64_f32_e32 v[2:3], v0
.LBB10_69:
	s_or_b64 exec, exec, s[10:11]
                                        ; implicit-def: $vgpr0_vgpr1
.LBB10_70:
	s_andn2_saveexec_b64 s[8:9], s[8:9]
	s_cbranch_execz .LBB10_72
; %bb.71:
	flat_load_ushort v0, v[0:1]
	s_waitcnt vmcnt(0) lgkmcnt(0)
	v_cvt_f32_f16_e32 v0, v0
	v_cvt_f64_f32_e32 v[2:3], v0
.LBB10_72:
	s_or_b64 exec, exec, s[8:9]
.LBB10_73:
	s_or_b64 exec, exec, s[6:7]
                                        ; implicit-def: $vgpr4
                                        ; implicit-def: $vgpr0_vgpr1
.LBB10_74:
	s_andn2_saveexec_b64 s[2:3], s[2:3]
	s_cbranch_execz .LBB10_92
; %bb.75:
	s_waitcnt vmcnt(0) lgkmcnt(0)
	v_mov_b32_e32 v2, 1
	v_cmp_gt_i16_sdwa s[6:7], v4, v2 src0_sel:BYTE_0 src1_sel:DWORD
                                        ; implicit-def: $vgpr2_vgpr3
	s_and_saveexec_b64 s[8:9], s[6:7]
	s_xor_b64 s[6:7], exec, s[8:9]
	s_cbranch_execz .LBB10_85
; %bb.76:
	v_mov_b32_e32 v2, 2
	v_cmp_gt_i16_sdwa s[8:9], v4, v2 src0_sel:BYTE_0 src1_sel:DWORD
                                        ; implicit-def: $vgpr2_vgpr3
	s_and_saveexec_b64 s[10:11], s[8:9]
	s_xor_b64 s[8:9], exec, s[10:11]
	s_cbranch_execz .LBB10_82
; %bb.77:
	;; [unrolled: 7-line block ×3, first 2 shown]
	flat_load_dwordx2 v[0:1], v[0:1]
	s_waitcnt vmcnt(0) lgkmcnt(0)
	v_cvt_f64_i32_e32 v[2:3], v1
	v_ldexp_f64 v[2:3], v[2:3], 32
	v_cvt_f64_u32_e32 v[0:1], v0
	v_add_f64 v[2:3], v[2:3], v[0:1]
                                        ; implicit-def: $vgpr0_vgpr1
.LBB10_79:
	s_andn2_saveexec_b64 s[10:11], s[10:11]
	s_cbranch_execz .LBB10_81
; %bb.80:
	flat_load_dword v0, v[0:1]
	s_waitcnt vmcnt(0) lgkmcnt(0)
	v_cvt_f64_i32_e32 v[2:3], v0
.LBB10_81:
	s_or_b64 exec, exec, s[10:11]
                                        ; implicit-def: $vgpr0_vgpr1
.LBB10_82:
	s_andn2_saveexec_b64 s[8:9], s[8:9]
	s_cbranch_execz .LBB10_84
; %bb.83:
	flat_load_sshort v0, v[0:1]
	s_waitcnt vmcnt(0) lgkmcnt(0)
	v_cvt_f64_i32_e32 v[2:3], v0
.LBB10_84:
	s_or_b64 exec, exec, s[8:9]
                                        ; implicit-def: $vgpr0_vgpr1
                                        ; implicit-def: $vgpr4
.LBB10_85:
	s_andn2_saveexec_b64 s[6:7], s[6:7]
	s_cbranch_execz .LBB10_91
; %bb.86:
	v_mov_b32_e32 v2, 0
	v_cmp_gt_i16_sdwa s[8:9], v4, v2 src0_sel:BYTE_0 src1_sel:DWORD
                                        ; implicit-def: $vgpr2_vgpr3
	s_and_saveexec_b64 s[10:11], s[8:9]
	s_xor_b64 s[8:9], exec, s[10:11]
	s_cbranch_execz .LBB10_88
; %bb.87:
	flat_load_sbyte v0, v[0:1]
	s_waitcnt vmcnt(0) lgkmcnt(0)
	v_cvt_f64_i32_e32 v[2:3], v0
                                        ; implicit-def: $vgpr0_vgpr1
.LBB10_88:
	s_andn2_saveexec_b64 s[8:9], s[8:9]
	s_cbranch_execz .LBB10_90
; %bb.89:
	flat_load_ubyte v0, v[0:1]
	s_waitcnt vmcnt(0) lgkmcnt(0)
	v_cvt_f64_u32_e32 v[2:3], v0
.LBB10_90:
	s_or_b64 exec, exec, s[8:9]
.LBB10_91:
	s_or_b64 exec, exec, s[6:7]
.LBB10_92:
	s_or_b64 exec, exec, s[2:3]
	s_or_b64 s[4:5], s[4:5], exec
	s_or_b64 exec, exec, s[0:1]
                                        ; implicit-def: $vgpr0_vgpr1
	s_and_saveexec_b64 s[2:3], s[4:5]
	s_cbranch_execnz .LBB10_42
.LBB10_93:
	s_or_b64 exec, exec, s[2:3]
	s_waitcnt vmcnt(0) lgkmcnt(0)
	s_setpc_b64 s[30:31]
.LBB10_94:
	s_andn2_saveexec_b64 s[6:7], s[6:7]
	s_cbranch_execz .LBB10_37
.LBB10_95:
	v_mov_b32_e32 v2, 22
	v_cmp_gt_i16_sdwa s[2:3], v4, v2 src0_sel:BYTE_0 src1_sel:DWORD
	s_mov_b64 s[10:11], s[4:5]
                                        ; implicit-def: $vgpr2_vgpr3
	s_and_saveexec_b64 s[12:13], s[2:3]
	s_xor_b64 s[2:3], exec, s[12:13]
	s_cbranch_execz .LBB10_113
; %bb.96:
	v_mov_b32_e32 v2, 23
	v_cmp_gt_i16_sdwa s[10:11], v4, v2 src0_sel:BYTE_0 src1_sel:DWORD
                                        ; implicit-def: $vgpr2_vgpr3
	s_and_saveexec_b64 s[12:13], s[10:11]
	s_xor_b64 s[10:11], exec, s[12:13]
	s_cbranch_execz .LBB10_110
; %bb.97:
	v_mov_b32_e32 v2, 24
	v_cmp_gt_i16_sdwa s[12:13], v4, v2 src0_sel:BYTE_0 src1_sel:DWORD
                                        ; implicit-def: $vgpr2_vgpr3
	s_and_saveexec_b64 s[14:15], s[12:13]
	s_xor_b64 s[12:13], exec, s[14:15]
	s_cbranch_execz .LBB10_107
; %bb.98:
	flat_load_ubyte v4, v[0:1]
	s_movk_i32 s14, 0x7f
	s_waitcnt vmcnt(0) lgkmcnt(0)
	v_cmp_lt_i16_e32 vcc, s14, v4
	s_mov_b64 s[14:15], 0
	s_and_saveexec_b64 s[16:17], vcc
	s_xor_b64 s[16:17], exec, s[16:17]
	s_cbranch_execz .LBB10_102
; %bb.99:
	s_movk_i32 s14, 0x80
	v_cmp_eq_u16_e32 vcc, s14, v4
	s_mov_b64 s[14:15], -1
	s_and_saveexec_b64 s[18:19], vcc
; %bb.100:
	s_xor_b64 s[14:15], exec, -1
; %bb.101:
	s_or_b64 exec, exec, s[18:19]
	s_and_b64 s[14:15], s[14:15], exec
.LBB10_102:
	s_or_saveexec_b64 s[16:17], s[16:17]
	v_bfrev_b32_e32 v2, 4
	v_mov_b32_e32 v3, 0x7ff80000
	s_xor_b64 exec, exec, s[16:17]
; %bb.103:
	v_cmp_ne_u16_e32 vcc, 0, v4
	s_andn2_b64 s[14:15], s[14:15], exec
	s_and_b64 s[18:19], vcc, exec
	v_mov_b64_e32 v[2:3], 0
	s_or_b64 s[14:15], s[14:15], s[18:19]
; %bb.104:
	s_or_b64 exec, exec, s[16:17]
	s_and_saveexec_b64 s[16:17], s[14:15]
	s_cbranch_execz .LBB10_106
; %bb.105:
	v_and_b32_e32 v3, 0xffff, v4
	v_lshlrev_b32_e32 v2, 24, v4
	v_and_b32_e32 v4, 3, v3
	v_ffbh_u32_e32 v6, v4
	v_min_u32_e32 v6, 32, v6
	v_subrev_u32_e32 v7, 29, v6
	v_bfe_u32 v5, v3, 2, 5
	v_lshlrev_b32_e32 v3, v7, v3
	v_sub_u32_e32 v6, 30, v6
	v_and_b32_e32 v3, 3, v3
	v_cmp_eq_u32_e32 vcc, 0, v5
	v_and_b32_e32 v2, 0x80000000, v2
	s_nop 0
	v_cndmask_b32_e32 v5, v5, v6, vcc
	v_cndmask_b32_e32 v3, v4, v3, vcc
	v_mov_b32_e32 v4, 0x37800000
	v_lshlrev_b32_e32 v3, 21, v3
	v_lshl_add_u32 v4, v5, 23, v4
	v_or3_b32 v2, v2, v4, v3
	v_cvt_f64_f32_e32 v[2:3], v2
.LBB10_106:
	s_or_b64 exec, exec, s[16:17]
.LBB10_107:
	s_andn2_saveexec_b64 s[12:13], s[12:13]
	s_cbranch_execz .LBB10_109
; %bb.108:
	flat_load_ubyte v2, v[0:1]
	s_mov_b32 s14, 0x7f800000
	s_waitcnt vmcnt(0) lgkmcnt(0)
	v_lshlrev_b32_e32 v2, 24, v2
	v_and_b32_e32 v3, 0x7f000000, v2
	v_ffbh_u32_e32 v4, v3
	v_min_u32_e32 v4, 32, v4
	v_sub_u32_e64 v4, v4, 4 clamp
	v_lshlrev_b32_e32 v6, v4, v3
	v_lshlrev_b32_e32 v4, 23, v4
	v_lshrrev_b32_e32 v6, 4, v6
	v_add_u32_e32 v5, 0x1000000, v3
	v_sub_u32_e32 v4, v6, v4
	v_ashrrev_i32_e32 v5, 8, v5
	v_add_u32_e32 v4, 0x3c000000, v4
	v_and_or_b32 v4, v5, s14, v4
	v_cmp_ne_u32_e32 vcc, 0, v3
	s_brev_b32 s14, 1
	s_nop 0
	v_cndmask_b32_e32 v3, 0, v4, vcc
	v_and_or_b32 v2, v2, s14, v3
	v_cvt_f64_f32_e32 v[2:3], v2
.LBB10_109:
	s_or_b64 exec, exec, s[12:13]
.LBB10_110:
	s_andn2_saveexec_b64 s[10:11], s[10:11]
	s_cbranch_execz .LBB10_112
; %bb.111:
	flat_load_ubyte v2, v[0:1]
	s_movk_i32 s12, 0x7f00
	s_brev_b32 s13, 16
	s_waitcnt vmcnt(0) lgkmcnt(0)
	v_lshlrev_b16_e32 v3, 8, v2
	v_lshlrev_b32_e32 v2, 25, v2
	v_lshrrev_b32_e32 v4, 4, v2
	v_and_or_b32 v5, v3, s12, 0.5
	v_or_b32_e32 v4, 0x70000000, v4
	v_add_f32_e32 v5, -0.5, v5
	v_mul_f32_e32 v4, 0x7800000, v4
	v_cmp_gt_u32_e32 vcc, s13, v2
	v_bfe_i32 v3, v3, 0, 16
	s_brev_b32 s12, 1
	v_cndmask_b32_e32 v2, v4, v5, vcc
	v_and_or_b32 v2, v3, s12, v2
	v_cvt_f64_f32_e32 v[2:3], v2
.LBB10_112:
	s_or_b64 exec, exec, s[10:11]
	s_or_b64 s[10:11], s[4:5], exec
                                        ; implicit-def: $vgpr4
.LBB10_113:
	s_or_saveexec_b64 s[2:3], s[2:3]
	s_mov_b64 s[14:15], 0
	s_mov_b64 s[12:13], s[8:9]
	s_xor_b64 exec, exec, s[2:3]
	s_cbranch_execz .LBB10_121
; %bb.114:
	v_mov_b32_e32 v2, 14
	v_cmp_gt_i16_sdwa s[16:17], v4, v2 src0_sel:BYTE_0 src1_sel:DWORD
	s_mov_b64 s[12:13], s[8:9]
	s_mov_b64 s[14:15], s[10:11]
                                        ; implicit-def: $vgpr2_vgpr3
	s_and_saveexec_b64 s[18:19], s[16:17]
	s_xor_b64 s[16:17], exec, s[18:19]
	s_cbranch_execz .LBB10_118
; %bb.115:
	v_mov_b32_e32 v2, 15
	v_cmp_eq_u16_sdwa s[20:21], v4, v2 src0_sel:BYTE_0 src1_sel:DWORD
	s_mov_b64 s[12:13], -1
	s_mov_b64 s[14:15], s[10:11]
                                        ; implicit-def: $vgpr2_vgpr3
	s_and_saveexec_b64 s[18:19], s[20:21]
	s_cbranch_execz .LBB10_117
; %bb.116:
	flat_load_ushort v2, v[0:1]
	s_or_b64 s[14:15], s[10:11], exec
	s_xor_b64 s[12:13], exec, -1
	s_waitcnt vmcnt(0) lgkmcnt(0)
	v_lshlrev_b32_e32 v2, 16, v2
	v_cvt_f64_f32_e32 v[2:3], v2
.LBB10_117:
	s_or_b64 exec, exec, s[18:19]
	s_andn2_b64 s[18:19], s[10:11], exec
	s_and_b64 s[14:15], s[14:15], exec
	s_or_b64 s[14:15], s[18:19], s[14:15]
	s_andn2_b64 s[18:19], s[8:9], exec
	s_and_b64 s[12:13], s[12:13], exec
	s_or_b64 s[12:13], s[18:19], s[12:13]
                                        ; implicit-def: $vgpr4
.LBB10_118:
	s_or_saveexec_b64 s[16:17], s[16:17]
	s_mov_b64 s[18:19], 0
	s_xor_b64 exec, exec, s[16:17]
; %bb.119:
	v_mov_b32_e32 v5, 11
	v_cmp_ne_u16_sdwa s[20:21], v4, v5 src0_sel:BYTE_0 src1_sel:DWORD
	s_andn2_b64 s[12:13], s[12:13], exec
	s_and_b64 s[20:21], s[20:21], exec
	s_mov_b64 s[18:19], exec
	s_or_b64 s[12:13], s[12:13], s[20:21]
; %bb.120:
	s_or_b64 exec, exec, s[16:17]
	s_andn2_b64 s[10:11], s[10:11], exec
	s_and_b64 s[14:15], s[14:15], exec
	s_andn2_b64 s[16:17], s[8:9], exec
	s_and_b64 s[12:13], s[12:13], exec
	s_or_b64 s[10:11], s[10:11], s[14:15]
	s_and_b64 s[14:15], s[18:19], exec
	s_or_b64 s[12:13], s[16:17], s[12:13]
.LBB10_121:
	s_or_b64 exec, exec, s[2:3]
	s_andn2_b64 s[2:3], s[4:5], exec
	s_and_b64 s[4:5], s[10:11], exec
	s_andn2_b64 s[8:9], s[8:9], exec
	s_and_b64 s[10:11], s[12:13], exec
	s_or_b64 s[4:5], s[2:3], s[4:5]
	s_and_b64 s[2:3], s[14:15], exec
	s_or_b64 s[8:9], s[8:9], s[10:11]
	s_or_b64 exec, exec, s[6:7]
	s_and_saveexec_b64 s[6:7], s[8:9]
	s_cbranch_execz .LBB10_38
.LBB10_122:
	s_trap 2
	; divergent unreachable
	s_andn2_b64 s[2:3], s[2:3], exec
	s_or_b64 exec, exec, s[6:7]
	s_and_saveexec_b64 s[6:7], s[2:3]
	s_xor_b64 s[2:3], exec, s[6:7]
	s_cbranch_execnz .LBB10_39
	s_branch .LBB10_40
.LBB10_123:
	s_andn2_saveexec_b64 s[0:1], s[8:9]
	s_cbranch_execz .LBB10_125
.LBB10_124:
	s_mov_b32 s8, 0x6dc9c883
	s_mov_b32 s9, 0x3fe45f30
	v_mul_f64 v[4:5], |v[0:1]|, s[8:9]
	s_mov_b32 s8, 0x54442d18
	v_rndne_f64_e32 v[8:9], v[4:5]
	s_mov_b32 s9, 0xbff921fb
	v_fma_f64 v[4:5], v[8:9], s[8:9], |v[0:1]|
	s_mov_b32 s9, 0xbc91a626
	s_mov_b32 s8, 0x33145c00
	v_mul_f64 v[10:11], v[8:9], s[8:9]
	v_add_f64 v[20:21], v[4:5], v[10:11]
	v_fma_f64 v[6:7], s[8:9], v[8:9], v[4:5]
	s_mov_b32 s9, 0x3c91a626
	v_add_f64 v[4:5], v[4:5], -v[20:21]
	v_fma_f64 v[18:19], s[8:9], v[8:9], v[10:11]
	v_add_f64 v[4:5], v[4:5], v[10:11]
	v_add_f64 v[10:11], v[20:21], -v[6:7]
	v_add_f64 v[4:5], v[10:11], v[4:5]
	s_mov_b32 s8, 0x252049c0
	v_add_f64 v[10:11], v[4:5], -v[18:19]
	s_mov_b32 s9, 0xb97b839a
	v_fmac_f64_e32 v[10:11], s[8:9], v[8:9]
	v_add_f64 v[4:5], v[6:7], v[10:11]
	v_add_f64 v[6:7], v[4:5], -v[6:7]
	v_add_f64 v[6:7], v[10:11], -v[6:7]
	v_cvt_i32_f64_e32 v20, v[8:9]
.LBB10_125:
	s_or_b64 exec, exec, s[0:1]
                                        ; implicit-def: $vgpr21
                                        ; implicit-def: $vgpr8_vgpr9
                                        ; implicit-def: $vgpr10_vgpr11
	s_and_saveexec_b64 s[0:1], s[6:7]
	s_xor_b64 s[6:7], exec, s[0:1]
	s_cbranch_execz .LBB10_127
; %bb.126:
	s_mov_b32 s0, 0
	s_mov_b32 s1, 0x7b000000
	s_movk_i32 s8, 0xff80
	v_and_b32_e32 v10, 0x7fffffff, v1
	v_ldexp_f64 v[8:9], |v[0:1]|, s8
	v_cmp_ge_f64_e64 vcc, |v[0:1]|, s[0:1]
	s_mov_b32 s0, 0
	s_mov_b32 s1, 0x7ff00000
	v_cndmask_b32_e32 v9, v10, v9, vcc
	v_cndmask_b32_e32 v8, v0, v8, vcc
	v_mul_f64 v[18:19], v[16:17], v[8:9]
	v_mul_f64 v[10:11], v[14:15], v[8:9]
	v_fma_f64 v[16:17], v[16:17], v[8:9], -v[18:19]
	v_add_f64 v[22:23], v[10:11], v[16:17]
	v_add_f64 v[30:31], v[22:23], -v[10:11]
	v_add_f64 v[16:17], v[16:17], -v[30:31]
	;; [unrolled: 1-line block ×4, first 2 shown]
	v_fma_f64 v[10:11], v[14:15], v[8:9], -v[10:11]
	v_mul_f64 v[14:15], v[12:13], v[8:9]
	v_add_f64 v[16:17], v[16:17], v[30:31]
	v_add_f64 v[30:31], v[14:15], v[10:11]
	;; [unrolled: 1-line block ×4, first 2 shown]
	v_ldexp_f64 v[26:27], v[24:25], -2
	v_add_f64 v[18:19], v[24:25], -v[18:19]
	v_add_f64 v[24:25], v[32:33], -v[30:31]
	;; [unrolled: 1-line block ×5, first 2 shown]
	v_add_f64 v[16:17], v[16:17], v[24:25]
	v_add_f64 v[24:25], v[30:31], -v[14:15]
	v_add_f64 v[10:11], v[10:11], -v[24:25]
	;; [unrolled: 1-line block ×4, first 2 shown]
	v_add_f64 v[10:11], v[10:11], v[24:25]
	v_fract_f64_e32 v[28:29], v[26:27]
	v_add_f64 v[10:11], v[10:11], v[16:17]
	v_fma_f64 v[8:9], v[12:13], v[8:9], -v[14:15]
	v_add_f64 v[18:19], v[22:23], -v[18:19]
	v_add_f64 v[8:9], v[8:9], v[10:11]
	v_ldexp_f64 v[10:11], v[28:29], 2
	v_cmp_neq_f64_e64 vcc, |v[26:27]|, s[0:1]
	v_add_f64 v[22:23], v[18:19], v[32:33]
	v_mov_b32_e32 v14, 0x40100000
	v_cndmask_b32_e32 v11, 0, v11, vcc
	v_cndmask_b32_e32 v10, 0, v10, vcc
	v_add_f64 v[12:13], v[22:23], v[10:11]
	v_cmp_gt_f64_e32 vcc, 0, v[12:13]
	v_mov_b32_e32 v12, 0
	v_add_f64 v[18:19], v[22:23], -v[18:19]
	v_cndmask_b32_e32 v13, 0, v14, vcc
	v_add_f64 v[10:11], v[10:11], v[12:13]
	v_add_f64 v[14:15], v[22:23], v[10:11]
	v_cvt_i32_f64_e32 v13, v[14:15]
	v_cvt_f64_i32_e32 v[14:15], v13
	v_add_f64 v[10:11], v[10:11], -v[14:15]
	v_add_f64 v[14:15], v[22:23], v[10:11]
	v_add_f64 v[18:19], v[32:33], -v[18:19]
	v_add_f64 v[10:11], v[14:15], -v[10:11]
	v_add_f64 v[8:9], v[18:19], v[8:9]
	v_add_f64 v[10:11], v[22:23], -v[10:11]
	v_add_f64 v[8:9], v[8:9], v[10:11]
	v_cmp_le_f64_e32 vcc, 0.5, v[14:15]
	v_mov_b32_e32 v10, 0x3ff00000
	s_mov_b32 s8, 0x33145c07
	v_addc_co_u32_e64 v21, s[0:1], 0, v13, vcc
	v_cndmask_b32_e32 v13, 0, v10, vcc
	v_add_f64 v[10:11], v[14:15], -v[12:13]
	v_add_f64 v[12:13], v[10:11], v[8:9]
	s_mov_b32 s0, 0x54442d18
	v_add_f64 v[10:11], v[12:13], -v[10:11]
	s_mov_b32 s1, 0x3ff921fb
	v_add_f64 v[8:9], v[8:9], -v[10:11]
	v_mul_f64 v[10:11], v[12:13], s[0:1]
	v_fma_f64 v[14:15], v[12:13], s[0:1], -v[10:11]
	s_mov_b32 s9, 0x3c91a626
	v_fmac_f64_e32 v[14:15], s[8:9], v[12:13]
	v_fmac_f64_e32 v[14:15], s[0:1], v[8:9]
	v_add_f64 v[8:9], v[10:11], v[14:15]
	v_add_f64 v[10:11], v[8:9], -v[10:11]
	v_add_f64 v[10:11], v[14:15], -v[10:11]
	s_andn2_saveexec_b64 s[0:1], s[6:7]
	s_cbranch_execnz .LBB10_128
	s_branch .LBB10_129
.LBB10_127:
	s_andn2_saveexec_b64 s[0:1], s[6:7]
	s_cbranch_execz .LBB10_129
.LBB10_128:
	s_mov_b32 s6, 0x6dc9c883
	s_mov_b32 s7, 0x3fe45f30
	v_mul_f64 v[8:9], |v[0:1]|, s[6:7]
	s_mov_b32 s6, 0x54442d18
	v_rndne_f64_e32 v[12:13], v[8:9]
	s_mov_b32 s7, 0xbff921fb
	v_fma_f64 v[8:9], v[12:13], s[6:7], |v[0:1]|
	s_mov_b32 s7, 0xbc91a626
	s_mov_b32 s6, 0x33145c00
	v_mul_f64 v[14:15], v[12:13], s[6:7]
	v_add_f64 v[18:19], v[8:9], v[14:15]
	v_fma_f64 v[10:11], s[6:7], v[12:13], v[8:9]
	s_mov_b32 s7, 0x3c91a626
	v_add_f64 v[8:9], v[8:9], -v[18:19]
	v_fma_f64 v[16:17], s[6:7], v[12:13], v[14:15]
	v_add_f64 v[8:9], v[8:9], v[14:15]
	v_add_f64 v[14:15], v[18:19], -v[10:11]
	v_add_f64 v[8:9], v[14:15], v[8:9]
	s_mov_b32 s6, 0x252049c0
	v_add_f64 v[14:15], v[8:9], -v[16:17]
	s_mov_b32 s7, 0xb97b839a
	v_fmac_f64_e32 v[14:15], s[6:7], v[12:13]
	v_add_f64 v[8:9], v[10:11], v[14:15]
	v_add_f64 v[10:11], v[8:9], -v[10:11]
	v_add_f64 v[10:11], v[14:15], -v[10:11]
	v_cvt_i32_f64_e32 v21, v[12:13]
.LBB10_129:
	s_or_b64 exec, exec, s[0:1]
	s_mov_b32 s0, 0
	s_mov_b32 s1, 0x40140000
	v_div_scale_f64 v[12:13], s[6:7], v[2:3], v[2:3], s[0:1]
	v_rcp_f64_e32 v[14:15], v[12:13]
	v_mov_b32_e32 v22, 0x5948aa83
	v_mov_b32_e32 v23, 0x3fb19fdd
	;; [unrolled: 1-line block ×3, first 2 shown]
	v_fma_f64 v[16:17], -v[12:13], v[14:15], 1.0
	v_fmac_f64_e32 v[14:15], v[14:15], v[16:17]
	v_fma_f64 v[16:17], -v[12:13], v[14:15], 1.0
	v_fmac_f64_e32 v[14:15], v[14:15], v[16:17]
	v_div_scale_f64 v[16:17], vcc, s[0:1], v[2:3], s[0:1]
	v_mul_f64 v[18:19], v[16:17], v[14:15]
	v_fma_f64 v[12:13], -v[12:13], v[18:19], v[16:17]
	v_mov_b32_e32 v25, 0x4013edb5
	s_nop 0
	v_div_fmas_f64 v[12:13], v[12:13], v[14:15], v[18:19]
	v_div_fixup_f64 v[12:13], v[12:13], v[2:3], s[0:1]
	v_mul_f64 v[16:17], v[12:13], v[12:13]
	v_mov_b32_e32 v14, 0x4c6c651b
	v_mov_b32_e32 v15, 0x3f48f92c
	v_fmac_f64_e32 v[14:15], 0, v[16:17]
	v_mov_b32_e32 v18, 0xa3fec4b6
	v_mov_b32_e32 v19, 0x3fb2b948
	v_fmac_f64_e32 v[18:19], v[16:17], v[14:15]
	;; [unrolled: 3-line block ×7, first 2 shown]
	v_fmac_f64_e32 v[22:23], v[16:17], v[14:15]
	v_mov_b32_e32 v14, 0xb850eed6
	v_mov_b32_e32 v15, 0x3ff1aea9
	v_fmac_f64_e32 v[14:15], v[16:17], v[22:23]
	v_mov_b32_e32 v22, 0xf7d251a1
	v_mov_b32_e32 v23, 0x40144ba2
	;; [unrolled: 3-line block ×5, first 2 shown]
	v_fmac_f64_e32 v[14:15], 0, v[16:17]
	v_fmac_f64_e32 v[24:25], v[16:17], v[14:15]
	v_mov_b32_e32 v14, 0x9acf1c67
	v_mov_b32_e32 v15, 0x4052f4b9
	v_fmac_f64_e32 v[14:15], v[16:17], v[24:25]
	v_mov_b32_e32 v24, 0x47aa180d
	v_mov_b32_e32 v25, 0x4076ec79
	;; [unrolled: 3-line block ×6, first 2 shown]
	v_mov_b32_e32 v24, 0x60895077
	v_mov_b32_e32 v25, 0x40528f30
	v_fmac_f64_e32 v[14:15], v[16:17], v[26:27]
	v_fmac_f64_e32 v[24:25], 0, v[16:17]
	v_mov_b32_e32 v26, 0xa20e5f6f
	v_mov_b32_e32 v27, 0x409081cb
	v_fmac_f64_e32 v[26:27], v[16:17], v[24:25]
	v_mov_b32_e32 v24, 0x1bfdfe81
	v_mov_b32_e32 v25, 0x40b37a69
	;; [unrolled: 3-line block ×5, first 2 shown]
	v_fma_f64 v[22:23], v[16:17], v[22:23], 1.0
	v_fmac_f64_e32 v[26:27], v[16:17], v[24:25]
	v_fma_f64 v[24:25], v[16:17], v[18:19], 1.0
	v_div_scale_f64 v[28:29], s[0:1], v[22:23], v[22:23], v[24:25]
	v_rcp_f64_e32 v[30:31], v[28:29]
	v_mov_b32_e32 v18, 0x6ae75997
	v_mov_b32_e32 v19, 0x4075017f
	v_fmac_f64_e32 v[18:19], v[16:17], v[26:27]
	v_fma_f64 v[16:17], -v[28:29], v[30:31], 1.0
	v_fmac_f64_e32 v[30:31], v[30:31], v[16:17]
	v_fma_f64 v[16:17], -v[28:29], v[30:31], 1.0
	v_fmac_f64_e32 v[30:31], v[30:31], v[16:17]
	v_div_scale_f64 v[16:17], vcc, v[24:25], v[22:23], v[24:25]
	v_mul_f64 v[26:27], v[16:17], v[30:31]
	v_fma_f64 v[16:17], -v[28:29], v[26:27], v[16:17]
	s_mov_b32 s0, 0x9037ab78
	s_nop 0
	v_div_fmas_f64 v[16:17], v[16:17], v[30:31], v[26:27]
	s_mov_b32 s1, 0x3e21eeb6
	s_mov_b32 s6, 0x46cc5e42
	v_div_fixup_f64 v[16:17], v[16:17], v[22:23], v[24:25]
	v_mul_f64 v[22:23], v[4:5], v[4:5]
	s_mov_b32 s7, 0xbda907db
	v_mov_b64_e32 v[30:31], s[0:1]
	s_mov_b32 s8, 0xa17f65f6
	v_mul_f64 v[24:25], v[22:23], 0.5
	v_fma_f64 v[32:33], s[6:7], v[22:23], v[30:31]
	s_mov_b32 s9, 0xbe927e4f
	s_mov_b32 s10, 0x19f4ec90
	v_add_f64 v[26:27], -v[24:25], 1.0
	v_fma_f64 v[32:33], v[22:23], v[32:33], s[8:9]
	s_mov_b32 s11, 0x3efa01a0
	s_mov_b32 s12, 0x16c16967
	v_add_f64 v[28:29], -v[26:27], 1.0
	v_fma_f64 v[32:33], v[22:23], v[32:33], s[10:11]
	s_mov_b32 s13, 0xbf56c16c
	s_mov_b32 s14, 0x55555555
	v_add_f64 v[24:25], v[28:29], -v[24:25]
	v_fma_f64 v[32:33], v[22:23], v[32:33], s[12:13]
	s_mov_b32 s15, 0x3fa55555
	v_mul_f64 v[28:29], v[22:23], v[22:23]
	v_fma_f64 v[32:33], v[22:23], v[32:33], s[14:15]
	v_fma_f64 v[24:25], v[4:5], -v[6:7], v[24:25]
	s_mov_b32 s0, 0xb42fdfa7
	v_fmac_f64_e32 v[24:25], v[28:29], v[32:33]
	s_mov_b32 s1, 0xbe5ae600
	s_mov_b32 s16, 0xf9a43bb8
	v_add_f64 v[24:25], v[26:27], v[24:25]
	s_mov_b32 s17, 0x3de5e0b2
	v_mov_b64_e32 v[26:27], s[0:1]
	s_mov_b32 s18, 0x796cde01
	v_fma_f64 v[28:29], s[16:17], v[22:23], v[26:27]
	s_mov_b32 s19, 0x3ec71de3
	s_mov_b32 s20, 0x19e83e5c
	v_fma_f64 v[28:29], v[22:23], v[28:29], s[18:19]
	s_mov_b32 s21, 0xbf2a01a0
	;; [unrolled: 3-line block ×3, first 2 shown]
	v_fma_f64 v[28:29], v[22:23], v[28:29], s[22:23]
	v_mul_f64 v[32:33], v[4:5], -v[22:23]
	v_mul_f64 v[34:35], v[6:7], 0.5
	v_fmac_f64_e32 v[34:35], v[32:33], v[28:29]
	v_fma_f64 v[6:7], v[22:23], v[34:35], -v[6:7]
	s_mov_b32 s25, 0xbfc55555
	s_mov_b32 s24, s14
	v_fmac_f64_e32 v[6:7], s[24:25], v[32:33]
	v_add_f64 v[4:5], v[4:5], -v[6:7]
	v_and_b32_e32 v6, 1, v20
	v_cmp_eq_u32_e32 vcc, 0, v6
	s_brev_b32 s26, 1
	s_movk_i32 s27, 0x1f8
	v_cndmask_b32_e32 v22, v24, v4, vcc
	v_cndmask_b32_e32 v4, v25, v5, vcc
	v_lshlrev_b32_e32 v5, 30, v20
	v_xor_b32_e32 v5, v5, v1
	v_bitop3_b32 v20, v4, v5, s26 bitop3:0x78
	v_div_scale_f64 v[4:5], s[0:1], v[18:19], v[18:19], v[14:15]
	v_rcp_f64_e32 v[6:7], v[4:5]
	v_cmp_class_f64_e64 s[0:1], v[0:1], s27
	v_mov_b32_e32 v28, 0x7ff80000
	s_nop 0
	v_cndmask_b32_e64 v0, 0, v22, s[0:1]
	v_fma_f64 v[22:23], -v[4:5], v[6:7], 1.0
	v_fmac_f64_e32 v[6:7], v[6:7], v[22:23]
	v_fma_f64 v[22:23], -v[4:5], v[6:7], 1.0
	v_fmac_f64_e32 v[6:7], v[6:7], v[22:23]
	v_div_scale_f64 v[22:23], vcc, v[14:15], v[18:19], v[14:15]
	v_mul_f64 v[24:25], v[22:23], v[6:7]
	v_fma_f64 v[4:5], -v[4:5], v[24:25], v[22:23]
	v_cndmask_b32_e64 v1, v28, v20, s[0:1]
	s_nop 0
	v_div_fmas_f64 v[4:5], v[4:5], v[6:7], v[24:25]
	v_div_fixup_f64 v[4:5], v[4:5], v[18:19], v[14:15]
	v_mul_f64 v[6:7], v[8:9], v[8:9]
	v_mul_f64 v[4:5], v[12:13], v[4:5]
	v_mul_f64 v[12:13], v[6:7], 0.5
	v_fmac_f64_e32 v[30:31], s[6:7], v[6:7]
	v_add_f64 v[14:15], -v[12:13], 1.0
	v_fma_f64 v[22:23], v[6:7], v[30:31], s[8:9]
	v_add_f64 v[18:19], -v[14:15], 1.0
	v_fma_f64 v[22:23], v[6:7], v[22:23], s[10:11]
	v_add_f64 v[12:13], v[18:19], -v[12:13]
	v_fma_f64 v[22:23], v[6:7], v[22:23], s[12:13]
	v_mul_f64 v[18:19], v[6:7], v[6:7]
	v_fma_f64 v[22:23], v[6:7], v[22:23], s[14:15]
	v_fma_f64 v[12:13], v[8:9], -v[10:11], v[12:13]
	v_fmac_f64_e32 v[12:13], v[18:19], v[22:23]
	v_fmac_f64_e32 v[26:27], s[16:17], v[6:7]
	v_add_f64 v[12:13], v[14:15], v[12:13]
	v_fma_f64 v[14:15], v[6:7], v[26:27], s[18:19]
	v_fma_f64 v[14:15], v[6:7], v[14:15], s[20:21]
	;; [unrolled: 1-line block ×3, first 2 shown]
	v_mul_f64 v[18:19], v[8:9], -v[6:7]
	v_mul_f64 v[22:23], v[10:11], 0.5
	v_fmac_f64_e32 v[22:23], v[18:19], v[14:15]
	v_fma_f64 v[6:7], v[6:7], v[22:23], -v[10:11]
	v_fmac_f64_e32 v[6:7], s[24:25], v[18:19]
	v_add_f64 v[6:7], v[8:9], -v[6:7]
	v_and_b32_e32 v8, 1, v21
	v_xor_b32_e32 v7, 0x80000000, v7
	v_cmp_eq_u32_e32 vcc, 0, v8
	v_lshlrev_b32_e32 v8, 30, v21
	s_nop 0
	v_cndmask_b32_e32 v7, v7, v13, vcc
	v_cndmask_b32_e32 v6, v6, v12, vcc
	v_bitop3_b32 v7, v7, v8, s26 bitop3:0x78
	v_cndmask_b32_e64 v6, 0, v6, s[0:1]
	v_cndmask_b32_e64 v7, v28, v7, s[0:1]
	s_mov_b32 s0, 0
	v_mul_f64 v[4:5], v[4:5], v[6:7]
	s_brev_b32 s1, 8
	v_fmac_f64_e32 v[4:5], v[16:17], v[0:1]
	v_mov_b32_e32 v0, 0x100
	v_cmp_gt_f64_e32 vcc, s[0:1], v[2:3]
	s_mov_b32 s0, 0x33d43651
	s_mov_b32 s1, 0x3fe98845
	v_cndmask_b32_e32 v0, 0, v0, vcc
	v_ldexp_f64 v[0:1], v[2:3], v0
	v_rsq_f64_e32 v[2:3], v[0:1]
	v_mul_f64 v[4:5], v[4:5], s[0:1]
	v_mul_f64 v[6:7], v[0:1], v[2:3]
	v_mul_f64 v[2:3], v[2:3], 0.5
	v_fma_f64 v[8:9], -v[2:3], v[6:7], 0.5
	v_fmac_f64_e32 v[6:7], v[6:7], v[8:9]
	v_fma_f64 v[10:11], -v[6:7], v[6:7], v[0:1]
	v_fmac_f64_e32 v[2:3], v[2:3], v[8:9]
	v_fmac_f64_e32 v[6:7], v[10:11], v[2:3]
	v_fma_f64 v[8:9], -v[6:7], v[6:7], v[0:1]
	v_fmac_f64_e32 v[6:7], v[8:9], v[2:3]
	v_mov_b32_e32 v2, 0xffffff80
	v_cndmask_b32_e32 v2, 0, v2, vcc
	v_ldexp_f64 v[2:3], v[6:7], v2
	v_mov_b32_e32 v6, 0x260
	v_cmp_class_f64_e32 vcc, v[0:1], v6
	s_nop 1
	v_cndmask_b32_e32 v1, v3, v1, vcc
	v_cndmask_b32_e32 v0, v2, v0, vcc
	v_div_scale_f64 v[2:3], s[0:1], v[0:1], v[0:1], v[4:5]
	v_rcp_f64_e32 v[6:7], v[2:3]
	s_nop 0
	v_fma_f64 v[8:9], -v[2:3], v[6:7], 1.0
	v_fmac_f64_e32 v[6:7], v[6:7], v[8:9]
	v_fma_f64 v[8:9], -v[2:3], v[6:7], 1.0
	v_fmac_f64_e32 v[6:7], v[6:7], v[8:9]
	v_div_scale_f64 v[8:9], vcc, v[4:5], v[0:1], v[4:5]
	v_mul_f64 v[10:11], v[8:9], v[6:7]
	v_fma_f64 v[2:3], -v[2:3], v[10:11], v[8:9]
	s_nop 1
	v_div_fmas_f64 v[2:3], v[2:3], v[6:7], v[10:11]
	v_div_fixup_f64 v[0:1], v[2:3], v[0:1], v[4:5]
.LBB10_130:
	s_or_b64 exec, exec, s[4:5]
	s_or_b64 exec, exec, s[2:3]
	s_setpc_b64 s[30:31]
.Lfunc_end10:
	.size	_ZN2at6native6invokeIZZZNS0_12_GLOBAL__N_121bessel_y1_kernel_cudaERNS_18TensorIteratorBaseEENKUlvE_clEvENKUlvE_clEvEUldE_j15function_traitsIS7_EEENT1_11result_typeERKT_PrKPcPKT0_PKN3c1010ScalarTypeEi, .Lfunc_end10-_ZN2at6native6invokeIZZZNS0_12_GLOBAL__N_121bessel_y1_kernel_cudaERNS_18TensorIteratorBaseEENKUlvE_clEvENKUlvE_clEvEUldE_j15function_traitsIS7_EEENT1_11result_typeERKT_PrKPcPKT0_PKN3c1010ScalarTypeEi
                                        ; -- End function
	.set .L_ZN2at6native6invokeIZZZNS0_12_GLOBAL__N_121bessel_y1_kernel_cudaERNS_18TensorIteratorBaseEENKUlvE_clEvENKUlvE_clEvEUldE_j15function_traitsIS7_EEENT1_11result_typeERKT_PrKPcPKT0_PKN3c1010ScalarTypeEi.num_vgpr, 36
	.set .L_ZN2at6native6invokeIZZZNS0_12_GLOBAL__N_121bessel_y1_kernel_cudaERNS_18TensorIteratorBaseEENKUlvE_clEvENKUlvE_clEvEUldE_j15function_traitsIS7_EEENT1_11result_typeERKT_PrKPcPKT0_PKN3c1010ScalarTypeEi.num_agpr, 0
	.set .L_ZN2at6native6invokeIZZZNS0_12_GLOBAL__N_121bessel_y1_kernel_cudaERNS_18TensorIteratorBaseEENKUlvE_clEvENKUlvE_clEvEUldE_j15function_traitsIS7_EEENT1_11result_typeERKT_PrKPcPKT0_PKN3c1010ScalarTypeEi.numbered_sgpr, 32
	.set .L_ZN2at6native6invokeIZZZNS0_12_GLOBAL__N_121bessel_y1_kernel_cudaERNS_18TensorIteratorBaseEENKUlvE_clEvENKUlvE_clEvEUldE_j15function_traitsIS7_EEENT1_11result_typeERKT_PrKPcPKT0_PKN3c1010ScalarTypeEi.num_named_barrier, 0
	.set .L_ZN2at6native6invokeIZZZNS0_12_GLOBAL__N_121bessel_y1_kernel_cudaERNS_18TensorIteratorBaseEENKUlvE_clEvENKUlvE_clEvEUldE_j15function_traitsIS7_EEENT1_11result_typeERKT_PrKPcPKT0_PKN3c1010ScalarTypeEi.private_seg_size, 0
	.set .L_ZN2at6native6invokeIZZZNS0_12_GLOBAL__N_121bessel_y1_kernel_cudaERNS_18TensorIteratorBaseEENKUlvE_clEvENKUlvE_clEvEUldE_j15function_traitsIS7_EEENT1_11result_typeERKT_PrKPcPKT0_PKN3c1010ScalarTypeEi.uses_vcc, 1
	.set .L_ZN2at6native6invokeIZZZNS0_12_GLOBAL__N_121bessel_y1_kernel_cudaERNS_18TensorIteratorBaseEENKUlvE_clEvENKUlvE_clEvEUldE_j15function_traitsIS7_EEENT1_11result_typeERKT_PrKPcPKT0_PKN3c1010ScalarTypeEi.uses_flat_scratch, 0
	.set .L_ZN2at6native6invokeIZZZNS0_12_GLOBAL__N_121bessel_y1_kernel_cudaERNS_18TensorIteratorBaseEENKUlvE_clEvENKUlvE_clEvEUldE_j15function_traitsIS7_EEENT1_11result_typeERKT_PrKPcPKT0_PKN3c1010ScalarTypeEi.has_dyn_sized_stack, 0
	.set .L_ZN2at6native6invokeIZZZNS0_12_GLOBAL__N_121bessel_y1_kernel_cudaERNS_18TensorIteratorBaseEENKUlvE_clEvENKUlvE_clEvEUldE_j15function_traitsIS7_EEENT1_11result_typeERKT_PrKPcPKT0_PKN3c1010ScalarTypeEi.has_recursion, 0
	.set .L_ZN2at6native6invokeIZZZNS0_12_GLOBAL__N_121bessel_y1_kernel_cudaERNS_18TensorIteratorBaseEENKUlvE_clEvENKUlvE_clEvEUldE_j15function_traitsIS7_EEENT1_11result_typeERKT_PrKPcPKT0_PKN3c1010ScalarTypeEi.has_indirect_call, 0
	.section	.AMDGPU.csdata,"",@progbits
; Function info:
; codeLenInByte = 7508
; TotalNumSgprs: 38
; NumVgprs: 36
; NumAgprs: 0
; TotalNumVgprs: 36
; ScratchSize: 0
; MemoryBound: 1
	.section	.text._ZN2at6native32elementwise_kernel_manual_unrollILi128ELi4EZNS0_15gpu_kernel_implIZZZNS0_12_GLOBAL__N_121bessel_y1_kernel_cudaERNS_18TensorIteratorBaseEENKUlvE_clEvENKUlvE_clEvEUldE_EEvS5_RKT_EUlibE0_EEviT1_,"axG",@progbits,_ZN2at6native32elementwise_kernel_manual_unrollILi128ELi4EZNS0_15gpu_kernel_implIZZZNS0_12_GLOBAL__N_121bessel_y1_kernel_cudaERNS_18TensorIteratorBaseEENKUlvE_clEvENKUlvE_clEvEUldE_EEvS5_RKT_EUlibE0_EEviT1_,comdat
	.globl	_ZN2at6native32elementwise_kernel_manual_unrollILi128ELi4EZNS0_15gpu_kernel_implIZZZNS0_12_GLOBAL__N_121bessel_y1_kernel_cudaERNS_18TensorIteratorBaseEENKUlvE_clEvENKUlvE_clEvEUldE_EEvS5_RKT_EUlibE0_EEviT1_ ; -- Begin function _ZN2at6native32elementwise_kernel_manual_unrollILi128ELi4EZNS0_15gpu_kernel_implIZZZNS0_12_GLOBAL__N_121bessel_y1_kernel_cudaERNS_18TensorIteratorBaseEENKUlvE_clEvENKUlvE_clEvEUldE_EEvS5_RKT_EUlibE0_EEviT1_
	.p2align	8
	.type	_ZN2at6native32elementwise_kernel_manual_unrollILi128ELi4EZNS0_15gpu_kernel_implIZZZNS0_12_GLOBAL__N_121bessel_y1_kernel_cudaERNS_18TensorIteratorBaseEENKUlvE_clEvENKUlvE_clEvEUldE_EEvS5_RKT_EUlibE0_EEviT1_,@function
_ZN2at6native32elementwise_kernel_manual_unrollILi128ELi4EZNS0_15gpu_kernel_implIZZZNS0_12_GLOBAL__N_121bessel_y1_kernel_cudaERNS_18TensorIteratorBaseEENKUlvE_clEvENKUlvE_clEvEUldE_EEvS5_RKT_EUlibE0_EEviT1_: ; @_ZN2at6native32elementwise_kernel_manual_unrollILi128ELi4EZNS0_15gpu_kernel_implIZZZNS0_12_GLOBAL__N_121bessel_y1_kernel_cudaERNS_18TensorIteratorBaseEENKUlvE_clEvENKUlvE_clEvEUldE_EEvS5_RKT_EUlibE0_EEviT1_
; %bb.0:
	s_load_dword s74, s[0:1], 0x0
	s_load_dword s33, s[0:1], 0x8
	s_mov_b64 s[28:29], s[0:1]
	s_add_u32 s34, s28, 8
	s_addc_u32 s35, s29, 0
	v_lshl_or_b32 v40, s2, 9, v0
	s_waitcnt lgkmcnt(0)
	s_add_i32 s76, s33, -1
	v_or_b32_e32 v6, 0x180, v40
	s_cmp_gt_u32 s76, 1
	v_cmp_le_i32_e32 vcc, s74, v6
	s_cselect_b64 s[50:51], -1, 0
	s_mov_b64 s[48:49], 0
	s_mov_b64 s[40:41], 0
	s_mov_b32 s32, 0
	s_and_saveexec_b64 s[0:1], vcc
	s_xor_b64 s[52:53], exec, s[0:1]
	s_cbranch_execz .LBB11_570
; %bb.1:
	v_mov_b32_e32 v0, 0
	global_load_ushort v0, v0, s[34:35] offset:345
	s_load_dwordx4 s[44:47], s[34:35], 0x4
	s_load_dwordx2 s[54:55], s[34:35], 0x14
	s_load_dwordx4 s[40:43], s[34:35], 0xc4
	s_load_dwordx4 s[36:39], s[34:35], 0x148
	s_cmp_lg_u32 s33, 0
	s_cselect_b64 s[60:61], -1, 0
	s_add_u32 s58, s34, 0xc4
	s_addc_u32 s59, s35, 0
	s_min_u32 s78, s76, 15
	v_mov_b32_e32 v1, 8
	s_cmp_gt_u32 s33, 1
	v_cmp_gt_i32_e32 vcc, s74, v40
	s_mov_b64 s[0:1], -1
	s_mov_b64 s[68:69], 0
	s_cselect_b64 s[56:57], -1, 0
	s_mov_b64 s[62:63], 0
	s_waitcnt vmcnt(0)
	v_readfirstlane_b32 s77, v0
	v_lshrrev_b32_sdwa v36, v1, v0 dst_sel:DWORD dst_unused:UNUSED_PAD src0_sel:DWORD src1_sel:WORD_0
	s_and_saveexec_b64 s[64:65], vcc
                                        ; implicit-def: $vgpr2_vgpr3
	s_cbranch_execz .LBB11_139
; %bb.2:
	s_andn2_b64 vcc, exec, s[50:51]
	s_cbranch_vccnz .LBB11_8
; %bb.3:
	s_andn2_b64 vcc, exec, s[60:61]
	s_cbranch_vccnz .LBB11_9
; %bb.4:
	s_add_i32 s25, s78, 1
	s_cmp_eq_u32 s76, 2
	s_cbranch_scc1 .LBB11_10
; %bb.5:
	s_and_b32 s24, s25, 28
	s_mov_b32 s26, 0
	v_mov_b32_e32 v38, 0
	v_mov_b32_e32 v2, 0
	s_mov_b64 s[20:21], s[34:35]
	s_mov_b64 s[22:23], s[58:59]
	v_mov_b32_e32 v0, v40
.LBB11_6:                               ; =>This Inner Loop Header: Depth=1
	s_load_dwordx8 s[8:15], s[20:21], 0x4
	s_load_dwordx4 s[16:19], s[20:21], 0x24
	s_load_dwordx8 s[0:7], s[22:23], 0x0
	s_add_u32 s20, s20, 48
	s_addc_u32 s21, s21, 0
	s_waitcnt lgkmcnt(0)
	v_mul_hi_u32 v1, s9, v0
	v_add_u32_e32 v1, v0, v1
	v_lshrrev_b32_e32 v1, s10, v1
	v_mul_lo_u32 v3, v1, s8
	v_mul_hi_u32 v4, s12, v1
	v_sub_u32_e32 v0, v0, v3
	v_add_u32_e32 v3, v1, v4
	v_lshrrev_b32_e32 v3, s13, v3
	v_mul_lo_u32 v5, v3, s11
	v_mul_hi_u32 v6, s15, v3
	v_sub_u32_e32 v1, v1, v5
	v_add_u32_e32 v5, v3, v6
	v_mul_lo_u32 v4, v0, s1
	v_mul_lo_u32 v0, v0, s0
	;; [unrolled: 1-line block ×4, first 2 shown]
	v_lshrrev_b32_e32 v5, s16, v5
	v_add3_u32 v1, v0, v38, v1
	v_add3_u32 v2, v4, v2, v6
	v_mul_lo_u32 v0, v5, s14
	v_mul_hi_u32 v4, s18, v5
	v_sub_u32_e32 v0, v3, v0
	v_add_u32_e32 v3, v5, v4
	v_mul_lo_u32 v4, v0, s4
	v_mul_lo_u32 v6, v0, s5
	v_lshrrev_b32_e32 v0, s19, v3
	s_add_i32 s26, s26, 4
	v_mul_lo_u32 v3, v0, s17
	s_add_u32 s22, s22, 32
	v_sub_u32_e32 v3, v5, v3
	s_addc_u32 s23, s23, 0
	v_mul_lo_u32 v5, v3, s6
	v_mul_lo_u32 v3, v3, s7
	s_cmp_lg_u32 s24, s26
	v_add3_u32 v2, v6, v2, v3
	v_add3_u32 v38, v4, v1, v5
	s_cbranch_scc1 .LBB11_6
; %bb.7:
	v_mov_b32_e32 v1, v2
	s_branch .LBB11_11
.LBB11_8:
                                        ; implicit-def: $vgpr2
                                        ; implicit-def: $vgpr38
	s_andn2_b64 vcc, exec, s[0:1]
	s_cbranch_vccz .LBB11_15
	s_branch .LBB11_17
.LBB11_9:
	v_mov_b32_e32 v2, 0
	v_mov_b32_e32 v38, 0
	s_branch .LBB11_14
.LBB11_10:
	v_mov_b32_e32 v38, 0
	s_mov_b32 s24, 0
	v_mov_b32_e32 v1, v38
                                        ; implicit-def: $vgpr2
	v_mov_b32_e32 v0, v40
.LBB11_11:
	s_and_b32 s4, s25, 3
	s_cmp_eq_u32 s4, 0
	s_cbranch_scc1 .LBB11_14
; %bb.12:
	s_lshl_b32 s0, s24, 3
	s_add_u32 s0, s34, s0
	s_addc_u32 s1, s35, 0
	s_add_u32 s0, s0, 0xc4
	s_addc_u32 s1, s1, 0
	s_mul_i32 s2, s24, 12
	s_add_u32 s2, s34, s2
	s_addc_u32 s3, s35, 0
.LBB11_13:                              ; =>This Inner Loop Header: Depth=1
	s_load_dwordx2 s[6:7], s[2:3], 0x4
	s_load_dword s5, s[2:3], 0xc
	s_load_dwordx2 s[8:9], s[0:1], 0x0
	v_mov_b32_e32 v2, v1
	s_add_u32 s2, s2, 12
	s_waitcnt lgkmcnt(0)
	v_mul_hi_u32 v1, s7, v0
	v_add_u32_e32 v1, v0, v1
	v_lshrrev_b32_e32 v1, s5, v1
	s_addc_u32 s3, s3, 0
	v_mul_lo_u32 v3, v1, s6
	s_add_u32 s0, s0, 8
	v_sub_u32_e32 v4, v0, v3
	s_addc_u32 s1, s1, 0
	s_add_i32 s4, s4, -1
	v_mad_u64_u32 v[2:3], s[6:7], v4, s9, v[2:3]
	s_cmp_lg_u32 s4, 0
	v_mov_b32_e32 v0, v1
	v_mad_u64_u32 v[38:39], s[6:7], v4, s8, v[38:39]
	v_mov_b32_e32 v1, v2
	s_cbranch_scc1 .LBB11_13
.LBB11_14:
	s_cbranch_execnz .LBB11_17
.LBB11_15:
	s_waitcnt lgkmcnt(0)
	v_mul_hi_u32 v0, s45, v40
	v_add_u32_e32 v0, v40, v0
	v_lshrrev_b32_e32 v0, s46, v0
	v_mul_lo_u32 v1, v0, s44
	v_sub_u32_e32 v1, v40, v1
	v_mul_lo_u32 v2, v1, s41
	s_andn2_b64 vcc, exec, s[56:57]
	v_mul_lo_u32 v38, v1, s40
	s_cbranch_vccnz .LBB11_17
; %bb.16:
	v_mul_hi_u32 v1, s54, v0
	v_add_u32_e32 v1, v0, v1
	v_lshrrev_b32_e32 v1, s55, v1
	v_mul_lo_u32 v1, v1, s47
	v_sub_u32_e32 v0, v0, v1
	v_mad_u64_u32 v[38:39], s[0:1], v0, s42, v[38:39]
	v_mad_u64_u32 v[2:3], s[0:1], v0, s43, v[2:3]
.LBB11_17:
	s_getpc_b64 s[0:1]
	s_add_u32 s0, s0, _ZN2at6native6invokeIZZZNS0_12_GLOBAL__N_121bessel_y1_kernel_cudaERNS_18TensorIteratorBaseEENKUlvE_clEvENKUlvE_clEvEUldE_j15function_traitsIS7_EEENT1_11result_typeERKT_PrKPcPKT0_PKN3c1010ScalarTypeEi@rel32@lo+4
	s_addc_u32 s1, s1, _ZN2at6native6invokeIZZZNS0_12_GLOBAL__N_121bessel_y1_kernel_cudaERNS_18TensorIteratorBaseEENKUlvE_clEvENKUlvE_clEvEUldE_j15function_traitsIS7_EEENT1_11result_typeERKT_PrKPcPKT0_PKN3c1010ScalarTypeEi@rel32@hi+12
	s_waitcnt lgkmcnt(0)
	v_mov_b32_e32 v0, s38
	v_mov_b32_e32 v1, s39
	;; [unrolled: 1-line block ×3, first 2 shown]
	s_swappc_b64 s[30:31], s[0:1]
	v_mov_b32_e32 v39, 0
	s_and_b32 s8, s77, 0xff
	s_cmp_lt_i32 s8, 11
	v_lshl_add_u64 v[4:5], s[36:37], 0, v[38:39]
	s_cbranch_scc1 .LBB11_24
; %bb.18:
	s_and_b32 s9, 0xffff, s8
	s_cmp_gt_i32 s9, 25
	s_cbranch_scc0 .LBB11_27
; %bb.19:
	s_cmp_gt_i32 s9, 28
	s_cbranch_scc0 .LBB11_28
; %bb.20:
	;; [unrolled: 3-line block ×4, first 2 shown]
	s_mov_b64 s[4:5], 0
	s_mov_b64 s[0:1], -1
	s_cmp_eq_u32 s9, 46
	s_mov_b64 s[2:3], 0
	s_cbranch_scc0 .LBB11_31
; %bb.23:
	v_cvt_f32_f64_e32 v2, v[0:1]
	v_bfe_u32 v3, v2, 16, 1
	s_movk_i32 s0, 0x7fff
	v_add3_u32 v3, v2, v3, s0
	v_cmp_o_f32_e32 vcc, v2, v2
	v_mov_b32_e32 v2, 0x7fc0
	s_mov_b64 s[2:3], -1
	v_cndmask_b32_sdwa v2, v2, v3, vcc dst_sel:DWORD dst_unused:UNUSED_PAD src0_sel:DWORD src1_sel:WORD_1
	global_store_dword v[4:5], v2, off
	s_mov_b64 s[0:1], 0
	s_branch .LBB11_31
.LBB11_24:
	s_mov_b64 s[0:1], 0
	s_mov_b64 s[2:3], 0
	s_cbranch_execnz .LBB11_99
.LBB11_25:
	s_andn2_b64 vcc, exec, s[2:3]
	s_cbranch_vccnz .LBB11_137
.LBB11_26:
	v_add_u32_e32 v40, 0x80, v40
	s_mov_b64 s[2:3], -1
	s_branch .LBB11_138
.LBB11_27:
	s_mov_b64 s[0:1], 0
	s_mov_b64 s[2:3], 0
	s_cbranch_execnz .LBB11_58
	s_branch .LBB11_98
.LBB11_28:
	s_mov_b64 s[4:5], -1
	s_mov_b64 s[0:1], 0
	s_mov_b64 s[2:3], 0
	s_branch .LBB11_41
.LBB11_29:
	s_mov_b64 s[4:5], -1
	s_mov_b64 s[0:1], 0
	s_mov_b64 s[2:3], 0
	s_branch .LBB11_37
.LBB11_30:
	s_mov_b64 s[4:5], -1
	s_mov_b64 s[0:1], 0
	s_mov_b64 s[2:3], 0
.LBB11_31:
	s_and_b64 vcc, exec, s[4:5]
	s_cbranch_vccz .LBB11_36
; %bb.32:
	s_cmp_eq_u32 s9, 44
	s_mov_b64 s[0:1], -1
	s_cbranch_scc0 .LBB11_36
; %bb.33:
	v_cvt_f32_f64_e32 v2, v[0:1]
	v_bfe_u32 v3, v2, 23, 8
	s_movk_i32 s0, 0xff
	v_cmp_ne_u32_e32 vcc, s0, v3
	v_mov_b32_e32 v6, 0xff
	s_and_saveexec_b64 s[2:3], vcc
; %bb.34:
	s_mov_b32 s0, 0x3fffff
	v_lshrrev_b32_e32 v6, 23, v2
	v_and_b32_e32 v7, 0x400000, v2
	v_and_or_b32 v2, v2, s0, v3
	v_cmp_ne_u32_e32 vcc, 0, v7
	v_cmp_ne_u32_e64 s[0:1], 0, v2
	s_and_b64 s[0:1], vcc, s[0:1]
	s_nop 0
	v_cndmask_b32_e64 v2, 0, 1, s[0:1]
	v_add_u32_e32 v6, v6, v2
; %bb.35:
	s_or_b64 exec, exec, s[2:3]
	s_mov_b64 s[2:3], -1
	s_mov_b64 s[0:1], 0
	global_store_byte v[4:5], v6, off
.LBB11_36:
	s_mov_b64 s[4:5], 0
.LBB11_37:
	s_and_b64 vcc, exec, s[4:5]
	s_cbranch_vccz .LBB11_40
; %bb.38:
	s_cmp_eq_u32 s9, 29
	s_mov_b64 s[0:1], -1
	s_cbranch_scc0 .LBB11_40
; %bb.39:
	v_trunc_f64_e32 v[2:3], v[0:1]
	s_movk_i32 s0, 0xffe0
	v_ldexp_f64 v[6:7], v[2:3], s0
	v_floor_f64_e32 v[6:7], v[6:7]
	v_fmac_f64_e32 v[2:3], 0xc1f00000, v[6:7]
	v_cvt_u32_f64_e32 v9, v[6:7]
	v_cvt_u32_f64_e32 v8, v[2:3]
	global_store_dwordx2 v[4:5], v[8:9], off
	s_mov_b64 s[2:3], -1
	s_mov_b64 s[0:1], 0
.LBB11_40:
	s_mov_b64 s[4:5], 0
.LBB11_41:
	s_and_b64 vcc, exec, s[4:5]
	s_cbranch_vccz .LBB11_57
; %bb.42:
	s_cmp_lt_i32 s9, 27
	s_mov_b64 s[2:3], -1
	s_cbranch_scc1 .LBB11_48
; %bb.43:
	s_cmp_gt_i32 s9, 27
	s_cbranch_scc0 .LBB11_45
; %bb.44:
	v_cvt_u32_f64_e32 v2, v[0:1]
	s_mov_b64 s[2:3], 0
	global_store_dword v[4:5], v2, off
.LBB11_45:
	s_andn2_b64 vcc, exec, s[2:3]
	s_cbranch_vccnz .LBB11_47
; %bb.46:
	v_cvt_u32_f64_e32 v2, v[0:1]
	global_store_short v[4:5], v2, off
.LBB11_47:
	s_mov_b64 s[2:3], 0
.LBB11_48:
	s_andn2_b64 vcc, exec, s[2:3]
	s_cbranch_vccnz .LBB11_56
; %bb.49:
	v_cvt_f32_f64_e32 v2, v[0:1]
	v_and_b32_e32 v3, 0x7fffffff, v2
	s_mov_b32 s2, 0x43800000
	v_cmp_gt_u32_e32 vcc, s2, v3
	v_mov_b32_e32 v6, 0x80
	s_and_saveexec_b64 s[2:3], vcc
	s_cbranch_execz .LBB11_55
; %bb.50:
	s_mov_b32 s4, 0x3bffffff
	v_cmp_lt_u32_e32 vcc, s4, v3
	s_mov_b64 s[4:5], 0
                                        ; implicit-def: $vgpr3
	s_and_saveexec_b64 s[6:7], vcc
	s_xor_b64 s[6:7], exec, s[6:7]
	s_cbranch_execz .LBB11_171
; %bb.51:
	v_bfe_u32 v3, v2, 20, 1
	s_mov_b32 s10, 0x487ffff
	v_add3_u32 v3, v2, v3, s10
	s_mov_b64 s[4:5], exec
	v_lshrrev_b32_e32 v3, 20, v3
	s_andn2_saveexec_b64 s[6:7], s[6:7]
	s_cbranch_execnz .LBB11_172
.LBB11_52:
	s_or_b64 exec, exec, s[6:7]
	v_mov_b32_e32 v6, 0
	s_and_saveexec_b64 s[6:7], s[4:5]
.LBB11_53:
	v_lshrrev_b32_e32 v2, 24, v2
	s_movk_i32 s4, 0x80
	v_and_or_b32 v6, v2, s4, v3
.LBB11_54:
	s_or_b64 exec, exec, s[6:7]
.LBB11_55:
	s_or_b64 exec, exec, s[2:3]
	global_store_byte v[4:5], v6, off
.LBB11_56:
	s_mov_b64 s[2:3], -1
.LBB11_57:
	s_branch .LBB11_98
.LBB11_58:
	s_cmp_gt_i32 s9, 22
	s_mov_b64 s[4:5], -1
	s_cbranch_scc0 .LBB11_90
; %bb.59:
	s_cmp_lt_i32 s9, 24
	s_mov_b64 s[2:3], -1
	s_cbranch_scc1 .LBB11_79
; %bb.60:
	s_cmp_gt_i32 s9, 24
	s_cbranch_scc0 .LBB11_68
; %bb.61:
	v_cvt_f32_f64_e32 v2, v[0:1]
	v_and_b32_e32 v3, 0x7fffffff, v2
	s_mov_b32 s2, 0x47800000
	v_cmp_gt_u32_e32 vcc, s2, v3
	v_mov_b32_e32 v6, 0x80
	s_and_saveexec_b64 s[2:3], vcc
	s_cbranch_execz .LBB11_67
; %bb.62:
	s_mov_b32 s4, 0x37ffffff
	v_cmp_lt_u32_e32 vcc, s4, v3
	s_mov_b64 s[4:5], 0
                                        ; implicit-def: $vgpr3
	s_and_saveexec_b64 s[6:7], vcc
	s_xor_b64 s[6:7], exec, s[6:7]
	s_cbranch_execz .LBB11_174
; %bb.63:
	v_bfe_u32 v3, v2, 21, 1
	s_mov_b32 s10, 0x88fffff
	v_add3_u32 v3, v2, v3, s10
	s_mov_b64 s[4:5], exec
	v_lshrrev_b32_e32 v3, 21, v3
	s_andn2_saveexec_b64 s[6:7], s[6:7]
	s_cbranch_execnz .LBB11_175
.LBB11_64:
	s_or_b64 exec, exec, s[6:7]
	v_mov_b32_e32 v6, 0
	s_and_saveexec_b64 s[6:7], s[4:5]
.LBB11_65:
	v_lshrrev_b32_e32 v2, 24, v2
	s_movk_i32 s4, 0x80
	v_and_or_b32 v6, v2, s4, v3
.LBB11_66:
	s_or_b64 exec, exec, s[6:7]
.LBB11_67:
	s_or_b64 exec, exec, s[2:3]
	s_mov_b64 s[2:3], 0
	global_store_byte v[4:5], v6, off
.LBB11_68:
	s_and_b64 vcc, exec, s[2:3]
	s_cbranch_vccz .LBB11_78
; %bb.69:
	v_cvt_f32_f64_e32 v2, v[0:1]
	v_and_b32_e32 v6, 0x7fffffff, v2
	s_mov_b32 s2, 0x43f00000
	v_cmp_gt_u32_e32 vcc, s2, v6
                                        ; implicit-def: $vgpr3
	s_and_saveexec_b64 s[2:3], vcc
	s_xor_b64 s[2:3], exec, s[2:3]
	s_cbranch_execz .LBB11_75
; %bb.70:
	s_mov_b32 s4, 0x3c7fffff
	v_cmp_lt_u32_e32 vcc, s4, v6
                                        ; implicit-def: $vgpr3
	s_and_saveexec_b64 s[4:5], vcc
	s_xor_b64 s[4:5], exec, s[4:5]
; %bb.71:
	v_bfe_u32 v3, v2, 20, 1
	s_mov_b32 s6, 0x407ffff
	v_add3_u32 v3, v2, v3, s6
	v_lshrrev_b32_e32 v6, 20, v3
	v_and_b32_e32 v3, 0xff00000, v3
	s_mov_b32 s6, 0x7f00000
	v_mov_b32_e32 v7, 0x7e
	v_cmp_ne_u32_e32 vcc, s6, v3
	s_nop 1
	v_cndmask_b32_e32 v3, v7, v6, vcc
; %bb.72:
	s_andn2_saveexec_b64 s[4:5], s[4:5]
; %bb.73:
	s_mov_b32 s6, 0x46800000
	v_add_f32_e64 v3, |v2|, s6
; %bb.74:
	s_or_b64 exec, exec, s[4:5]
                                        ; implicit-def: $vgpr6
.LBB11_75:
	s_andn2_saveexec_b64 s[2:3], s[2:3]
; %bb.76:
	s_mov_b32 s4, 0x7f800000
	v_mov_b32_e32 v3, 0x7e
	v_mov_b32_e32 v7, 0x7f
	v_cmp_lt_u32_e32 vcc, s4, v6
	s_nop 1
	v_cndmask_b32_e32 v3, v3, v7, vcc
; %bb.77:
	s_or_b64 exec, exec, s[2:3]
	v_lshrrev_b32_e32 v2, 24, v2
	s_movk_i32 s2, 0x80
	v_and_or_b32 v2, v2, s2, v3
	global_store_byte v[4:5], v2, off
.LBB11_78:
	s_mov_b64 s[2:3], 0
.LBB11_79:
	s_andn2_b64 vcc, exec, s[2:3]
	s_cbranch_vccnz .LBB11_89
; %bb.80:
	v_cvt_f32_f64_e32 v2, v[0:1]
	v_and_b32_e32 v6, 0x7fffffff, v2
	s_mov_b32 s2, 0x47800000
	v_cmp_gt_u32_e32 vcc, s2, v6
                                        ; implicit-def: $vgpr3
	s_and_saveexec_b64 s[2:3], vcc
	s_xor_b64 s[2:3], exec, s[2:3]
	s_cbranch_execz .LBB11_86
; %bb.81:
	s_mov_b32 s4, 0x387fffff
	v_cmp_lt_u32_e32 vcc, s4, v6
                                        ; implicit-def: $vgpr3
	s_and_saveexec_b64 s[4:5], vcc
	s_xor_b64 s[4:5], exec, s[4:5]
; %bb.82:
	v_bfe_u32 v3, v2, 21, 1
	s_mov_b32 s6, 0x80fffff
	v_add3_u32 v3, v2, v3, s6
	v_lshrrev_b32_e32 v3, 21, v3
; %bb.83:
	s_andn2_saveexec_b64 s[4:5], s[4:5]
; %bb.84:
	s_mov_b32 s6, 0x43000000
	v_add_f32_e64 v3, |v2|, s6
; %bb.85:
	s_or_b64 exec, exec, s[4:5]
                                        ; implicit-def: $vgpr6
.LBB11_86:
	s_andn2_saveexec_b64 s[2:3], s[2:3]
; %bb.87:
	s_mov_b32 s4, 0x7f800000
	v_mov_b32_e32 v3, 0x7c
	v_mov_b32_e32 v7, 0x7f
	v_cmp_lt_u32_e32 vcc, s4, v6
	s_nop 1
	v_cndmask_b32_e32 v3, v3, v7, vcc
; %bb.88:
	s_or_b64 exec, exec, s[2:3]
	v_lshrrev_b32_e32 v2, 24, v2
	s_movk_i32 s2, 0x80
	v_and_or_b32 v2, v2, s2, v3
	global_store_byte v[4:5], v2, off
.LBB11_89:
	s_mov_b64 s[4:5], 0
	s_mov_b64 s[2:3], -1
.LBB11_90:
	s_andn2_b64 vcc, exec, s[4:5]
	s_cbranch_vccnz .LBB11_98
; %bb.91:
	s_cmp_gt_i32 s9, 14
	s_mov_b64 s[4:5], -1
	s_cbranch_scc0 .LBB11_95
; %bb.92:
	s_cmp_eq_u32 s9, 15
	s_mov_b64 s[0:1], -1
	s_cbranch_scc0 .LBB11_94
; %bb.93:
	v_cvt_f32_f64_e32 v2, v[0:1]
	v_bfe_u32 v3, v2, 16, 1
	s_movk_i32 s0, 0x7fff
	v_add3_u32 v3, v2, v3, s0
	v_cmp_o_f32_e32 vcc, v2, v2
	v_mov_b32_e32 v2, 0x7fc0
	s_mov_b64 s[2:3], -1
	v_cndmask_b32_sdwa v2, v2, v3, vcc dst_sel:DWORD dst_unused:UNUSED_PAD src0_sel:DWORD src1_sel:WORD_1
	global_store_short v[4:5], v2, off
	s_mov_b64 s[0:1], 0
.LBB11_94:
	s_mov_b64 s[4:5], 0
.LBB11_95:
	s_and_b64 vcc, exec, s[4:5]
	s_cbranch_vccz .LBB11_98
; %bb.96:
	s_cmp_eq_u32 s9, 11
	s_mov_b64 s[0:1], -1
	s_cbranch_scc0 .LBB11_98
; %bb.97:
	v_cmp_neq_f64_e32 vcc, 0, v[0:1]
	s_mov_b64 s[0:1], 0
	s_mov_b64 s[2:3], -1
	v_cndmask_b32_e64 v2, 0, 1, vcc
	global_store_byte v[4:5], v2, off
.LBB11_98:
	s_branch .LBB11_25
.LBB11_99:
	s_and_b32 s4, 0xffff, s8
	s_cmp_lt_i32 s4, 5
	s_mov_b64 s[2:3], -1
	s_cbranch_scc1 .LBB11_120
; %bb.100:
	s_cmp_lt_i32 s4, 8
	s_cbranch_scc1 .LBB11_110
; %bb.101:
	s_cmp_lt_i32 s4, 9
	s_cbranch_scc1 .LBB11_107
; %bb.102:
	s_cmp_gt_i32 s4, 9
	s_cbranch_scc0 .LBB11_104
; %bb.103:
	v_mov_b32_e32 v2, 0
	v_mov_b32_e32 v3, v2
	global_store_dwordx4 v[4:5], v[0:3], off
	s_mov_b64 s[2:3], 0
.LBB11_104:
	s_andn2_b64 vcc, exec, s[2:3]
	s_cbranch_vccnz .LBB11_106
; %bb.105:
	v_cvt_f32_f64_e32 v2, v[0:1]
	v_mov_b32_e32 v3, 0
	global_store_dwordx2 v[4:5], v[2:3], off
.LBB11_106:
	s_mov_b64 s[2:3], 0
.LBB11_107:
	s_andn2_b64 vcc, exec, s[2:3]
	s_cbranch_vccnz .LBB11_109
; %bb.108:
	s_movk_i32 s2, 0x1ff
	v_and_or_b32 v2, v1, s2, v0
	v_cmp_ne_u32_e32 vcc, 0, v2
	v_lshrrev_b32_e32 v3, 8, v1
	s_movk_i32 s2, 0xffe
	v_cndmask_b32_e64 v2, 0, 1, vcc
	v_bfe_u32 v6, v1, 20, 11
	v_and_or_b32 v2, v3, s2, v2
	v_sub_u32_e32 v7, 0x3f1, v6
	v_or_b32_e32 v3, 0x1000, v2
	v_med3_i32 v7, v7, 0, 13
	v_lshrrev_b32_e32 v8, v7, v3
	v_lshlrev_b32_e32 v7, v7, v8
	v_cmp_ne_u32_e32 vcc, v7, v3
	v_add_u32_e32 v6, 0xfffffc10, v6
	v_lshl_or_b32 v7, v6, 12, v2
	v_cndmask_b32_e64 v3, 0, 1, vcc
	v_or_b32_e32 v3, v8, v3
	v_cmp_gt_i32_e32 vcc, 1, v6
	s_movk_i32 s2, 0x40f
	s_nop 0
	v_cndmask_b32_e32 v3, v7, v3, vcc
	v_and_b32_e32 v7, 7, v3
	v_cmp_lt_i32_e32 vcc, 5, v7
	v_lshrrev_b32_e32 v3, 2, v3
	s_nop 0
	v_cndmask_b32_e64 v8, 0, 1, vcc
	v_cmp_eq_u32_e32 vcc, 3, v7
	s_nop 1
	v_cndmask_b32_e64 v7, 0, 1, vcc
	v_or_b32_e32 v7, v7, v8
	v_add_u32_e32 v3, v3, v7
	v_mov_b32_e32 v7, 0x7c00
	v_cmp_gt_i32_e32 vcc, 31, v6
	v_mov_b32_e32 v8, 0x7e00
	s_nop 0
	v_cndmask_b32_e32 v3, v7, v3, vcc
	v_cmp_ne_u32_e32 vcc, 0, v2
	s_nop 1
	v_cndmask_b32_e32 v2, v7, v8, vcc
	v_cmp_eq_u32_e32 vcc, s2, v6
	s_mov_b32 s2, 0x8000
	s_nop 0
	v_cndmask_b32_e32 v2, v3, v2, vcc
	v_and_b32_sdwa v3, v1, s2 dst_sel:DWORD dst_unused:UNUSED_PAD src0_sel:WORD_1 src1_sel:DWORD
	s_mov_b32 s2, 0xffff
	v_bitop3_b32 v2, v3, s2, v2 bitop3:0xc8
	global_store_dword v[4:5], v2, off
.LBB11_109:
	s_mov_b64 s[2:3], 0
.LBB11_110:
	s_andn2_b64 vcc, exec, s[2:3]
	s_cbranch_vccnz .LBB11_119
; %bb.111:
	s_cmp_lt_i32 s4, 6
	s_mov_b64 s[2:3], -1
	s_cbranch_scc1 .LBB11_117
; %bb.112:
	s_cmp_gt_i32 s4, 6
	s_cbranch_scc0 .LBB11_114
; %bb.113:
	global_store_dwordx2 v[4:5], v[0:1], off
	s_mov_b64 s[2:3], 0
.LBB11_114:
	s_andn2_b64 vcc, exec, s[2:3]
	s_cbranch_vccnz .LBB11_116
; %bb.115:
	v_cvt_f32_f64_e32 v2, v[0:1]
	global_store_dword v[4:5], v2, off
.LBB11_116:
	s_mov_b64 s[2:3], 0
.LBB11_117:
	s_andn2_b64 vcc, exec, s[2:3]
	s_cbranch_vccnz .LBB11_119
; %bb.118:
	s_movk_i32 s2, 0x1ff
	v_and_or_b32 v2, v1, s2, v0
	v_cmp_ne_u32_e32 vcc, 0, v2
	v_lshrrev_b32_e32 v3, 8, v1
	s_movk_i32 s2, 0xffe
	v_cndmask_b32_e64 v2, 0, 1, vcc
	v_bfe_u32 v6, v1, 20, 11
	v_and_or_b32 v2, v3, s2, v2
	v_sub_u32_e32 v7, 0x3f1, v6
	v_or_b32_e32 v3, 0x1000, v2
	v_med3_i32 v7, v7, 0, 13
	v_lshrrev_b32_e32 v8, v7, v3
	v_lshlrev_b32_e32 v7, v7, v8
	v_cmp_ne_u32_e32 vcc, v7, v3
	v_add_u32_e32 v6, 0xfffffc10, v6
	v_lshl_or_b32 v7, v6, 12, v2
	v_cndmask_b32_e64 v3, 0, 1, vcc
	v_or_b32_e32 v3, v8, v3
	v_cmp_gt_i32_e32 vcc, 1, v6
	s_movk_i32 s2, 0x40f
	s_nop 0
	v_cndmask_b32_e32 v3, v7, v3, vcc
	v_and_b32_e32 v7, 7, v3
	v_cmp_lt_i32_e32 vcc, 5, v7
	v_lshrrev_b32_e32 v3, 2, v3
	s_nop 0
	v_cndmask_b32_e64 v8, 0, 1, vcc
	v_cmp_eq_u32_e32 vcc, 3, v7
	s_nop 1
	v_cndmask_b32_e64 v7, 0, 1, vcc
	v_or_b32_e32 v7, v7, v8
	v_add_u32_e32 v3, v3, v7
	v_mov_b32_e32 v7, 0x7c00
	v_cmp_gt_i32_e32 vcc, 31, v6
	v_mov_b32_e32 v8, 0x7e00
	s_nop 0
	v_cndmask_b32_e32 v3, v7, v3, vcc
	v_cmp_ne_u32_e32 vcc, 0, v2
	s_nop 1
	v_cndmask_b32_e32 v2, v7, v8, vcc
	v_cmp_eq_u32_e32 vcc, s2, v6
	s_mov_b32 s2, 0x8000
	s_nop 0
	v_cndmask_b32_e32 v2, v3, v2, vcc
	v_lshrrev_b32_e32 v3, 16, v1
	v_and_or_b32 v2, v3, s2, v2
	global_store_short v[4:5], v2, off
.LBB11_119:
	s_mov_b64 s[2:3], 0
.LBB11_120:
	s_andn2_b64 vcc, exec, s[2:3]
	s_cbranch_vccnz .LBB11_136
; %bb.121:
	s_cmp_lt_i32 s4, 2
	s_mov_b64 s[2:3], -1
	s_cbranch_scc1 .LBB11_131
; %bb.122:
	s_cmp_lt_i32 s4, 3
	s_cbranch_scc1 .LBB11_128
; %bb.123:
	s_cmp_gt_i32 s4, 3
	s_cbranch_scc0 .LBB11_125
; %bb.124:
	v_trunc_f64_e32 v[2:3], v[0:1]
	s_movk_i32 s2, 0xffe0
	v_ldexp_f64 v[6:7], v[2:3], s2
	v_floor_f64_e32 v[6:7], v[6:7]
	v_fmac_f64_e32 v[2:3], 0xc1f00000, v[6:7]
	v_cvt_i32_f64_e32 v9, v[6:7]
	v_cvt_u32_f64_e32 v8, v[2:3]
	global_store_dwordx2 v[4:5], v[8:9], off
	s_mov_b64 s[2:3], 0
.LBB11_125:
	s_andn2_b64 vcc, exec, s[2:3]
	s_cbranch_vccnz .LBB11_127
; %bb.126:
	v_cvt_i32_f64_e32 v2, v[0:1]
	global_store_dword v[4:5], v2, off
.LBB11_127:
	s_mov_b64 s[2:3], 0
.LBB11_128:
	s_andn2_b64 vcc, exec, s[2:3]
	s_cbranch_vccnz .LBB11_130
; %bb.129:
	v_cvt_i32_f64_e32 v2, v[0:1]
	global_store_short v[4:5], v2, off
.LBB11_130:
	s_mov_b64 s[2:3], 0
.LBB11_131:
	s_andn2_b64 vcc, exec, s[2:3]
	s_cbranch_vccnz .LBB11_136
; %bb.132:
	s_cmp_gt_i32 s4, 0
	s_mov_b64 s[2:3], -1
	s_cbranch_scc0 .LBB11_134
; %bb.133:
	v_cvt_i32_f64_e32 v2, v[0:1]
	global_store_byte v[4:5], v2, off
	s_mov_b64 s[2:3], 0
.LBB11_134:
	s_andn2_b64 vcc, exec, s[2:3]
	s_cbranch_vccnz .LBB11_136
; %bb.135:
	v_trunc_f64_e32 v[0:1], v[0:1]
	s_movk_i32 s2, 0xffe0
	v_ldexp_f64 v[2:3], v[0:1], s2
	v_floor_f64_e32 v[2:3], v[2:3]
	v_fmac_f64_e32 v[0:1], 0xc1f00000, v[2:3]
	v_cvt_u32_f64_e32 v0, v[0:1]
	global_store_byte v[4:5], v0, off
.LBB11_136:
	s_branch .LBB11_26
.LBB11_137:
	s_mov_b64 s[2:3], 0
                                        ; implicit-def: $vgpr40
.LBB11_138:
	s_and_b64 s[62:63], s[0:1], exec
	s_orn2_b64 s[0:1], s[2:3], exec
.LBB11_139:
	s_or_b64 exec, exec, s[64:65]
	s_mov_b64 s[2:3], 0
                                        ; implicit-def: $sgpr10
                                        ; implicit-def: $vgpr4_vgpr5
                                        ; implicit-def: $vgpr0_vgpr1
	s_and_saveexec_b64 s[64:65], s[0:1]
	s_cbranch_execz .LBB11_147
; %bb.140:
	v_cmp_gt_i32_e32 vcc, s74, v40
	s_mov_b64 s[4:5], -1
	s_mov_b64 s[66:67], s[62:63]
	s_and_saveexec_b64 s[68:69], vcc
	s_cbranch_execz .LBB11_286
; %bb.141:
	s_andn2_b64 vcc, exec, s[50:51]
	s_cbranch_vccnz .LBB11_150
; %bb.142:
	s_andn2_b64 vcc, exec, s[60:61]
	s_cbranch_vccnz .LBB11_151
; %bb.143:
	s_add_i32 s25, s78, 1
	s_cmp_eq_u32 s76, 2
	s_cbranch_scc1 .LBB11_152
; %bb.144:
	s_and_b32 s24, s25, 28
	s_mov_b32 s26, 0
	v_mov_b32_e32 v38, 0
	v_mov_b32_e32 v2, 0
	s_mov_b64 s[20:21], s[34:35]
	s_mov_b64 s[22:23], s[58:59]
	v_mov_b32_e32 v0, v40
.LBB11_145:                             ; =>This Inner Loop Header: Depth=1
	s_load_dwordx8 s[8:15], s[20:21], 0x4
	s_load_dwordx4 s[16:19], s[20:21], 0x24
	s_load_dwordx8 s[0:7], s[22:23], 0x0
	s_add_u32 s20, s20, 48
	s_addc_u32 s21, s21, 0
	s_waitcnt lgkmcnt(0)
	v_mul_hi_u32 v1, s9, v0
	v_add_u32_e32 v1, v0, v1
	v_lshrrev_b32_e32 v1, s10, v1
	v_mul_lo_u32 v3, v1, s8
	v_mul_hi_u32 v4, s12, v1
	v_sub_u32_e32 v0, v0, v3
	v_add_u32_e32 v3, v1, v4
	v_lshrrev_b32_e32 v3, s13, v3
	v_mul_lo_u32 v5, v3, s11
	v_mul_hi_u32 v6, s15, v3
	v_sub_u32_e32 v1, v1, v5
	v_add_u32_e32 v5, v3, v6
	v_mul_lo_u32 v4, v0, s1
	v_mul_lo_u32 v0, v0, s0
	;; [unrolled: 1-line block ×4, first 2 shown]
	v_lshrrev_b32_e32 v5, s16, v5
	v_add3_u32 v1, v0, v38, v1
	v_add3_u32 v2, v4, v2, v6
	v_mul_lo_u32 v0, v5, s14
	v_mul_hi_u32 v4, s18, v5
	v_sub_u32_e32 v0, v3, v0
	v_add_u32_e32 v3, v5, v4
	v_mul_lo_u32 v4, v0, s4
	v_mul_lo_u32 v6, v0, s5
	v_lshrrev_b32_e32 v0, s19, v3
	s_add_i32 s26, s26, 4
	v_mul_lo_u32 v3, v0, s17
	s_add_u32 s22, s22, 32
	v_sub_u32_e32 v3, v5, v3
	s_addc_u32 s23, s23, 0
	v_mul_lo_u32 v5, v3, s6
	v_mul_lo_u32 v3, v3, s7
	s_cmp_eq_u32 s24, s26
	v_add3_u32 v2, v6, v2, v3
	v_add3_u32 v38, v4, v1, v5
	s_cbranch_scc0 .LBB11_145
; %bb.146:
	v_mov_b32_e32 v1, v2
	s_branch .LBB11_153
.LBB11_147:
	s_or_b64 exec, exec, s[64:65]
	s_mov_b64 s[0:1], 0
	s_and_saveexec_b64 s[4:5], s[62:63]
	s_cbranch_execnz .LBB11_530
.LBB11_148:
	s_or_b64 exec, exec, s[4:5]
	s_and_saveexec_b64 s[4:5], s[68:69]
	s_xor_b64 s[4:5], exec, s[4:5]
	s_cbranch_execz .LBB11_531
.LBB11_149:
	v_cmp_neq_f64_e32 vcc, 0, v[0:1]
	s_nop 1
	v_cndmask_b32_e64 v2, 0, 1, vcc
	global_store_byte v[4:5], v2, off
	s_or_b64 exec, exec, s[4:5]
	s_and_saveexec_b64 s[4:5], s[2:3]
	s_xor_b64 s[2:3], exec, s[4:5]
	s_cbranch_execz .LBB11_569
	s_branch .LBB11_532
.LBB11_150:
                                        ; implicit-def: $vgpr2
                                        ; implicit-def: $vgpr38
	s_branch .LBB11_157
.LBB11_151:
	v_mov_b32_e32 v2, 0
	v_mov_b32_e32 v38, 0
	s_branch .LBB11_156
.LBB11_152:
	v_mov_b32_e32 v38, 0
	s_mov_b32 s24, 0
	v_mov_b32_e32 v1, v38
                                        ; implicit-def: $vgpr2
	v_mov_b32_e32 v0, v40
.LBB11_153:
	s_and_b32 s4, s25, 3
	s_cmp_eq_u32 s4, 0
	s_cbranch_scc1 .LBB11_156
; %bb.154:
	s_lshl_b32 s0, s24, 3
	s_add_u32 s0, s34, s0
	s_addc_u32 s1, s35, 0
	s_add_u32 s0, s0, 0xc4
	s_addc_u32 s1, s1, 0
	s_mul_i32 s2, s24, 12
	s_add_u32 s2, s34, s2
	s_addc_u32 s3, s35, 0
.LBB11_155:                             ; =>This Inner Loop Header: Depth=1
	s_load_dwordx2 s[6:7], s[2:3], 0x4
	s_load_dword s5, s[2:3], 0xc
	s_load_dwordx2 s[8:9], s[0:1], 0x0
	v_mov_b32_e32 v2, v1
	s_add_u32 s2, s2, 12
	s_waitcnt lgkmcnt(0)
	v_mul_hi_u32 v1, s7, v0
	v_add_u32_e32 v1, v0, v1
	v_lshrrev_b32_e32 v1, s5, v1
	s_addc_u32 s3, s3, 0
	v_mul_lo_u32 v3, v1, s6
	s_add_u32 s0, s0, 8
	v_sub_u32_e32 v4, v0, v3
	s_addc_u32 s1, s1, 0
	s_add_i32 s4, s4, -1
	v_mad_u64_u32 v[2:3], s[6:7], v4, s9, v[2:3]
	s_cmp_lg_u32 s4, 0
	v_mov_b32_e32 v0, v1
	v_mad_u64_u32 v[38:39], s[6:7], v4, s8, v[38:39]
	v_mov_b32_e32 v1, v2
	s_cbranch_scc1 .LBB11_155
.LBB11_156:
	s_cbranch_execnz .LBB11_159
.LBB11_157:
	s_waitcnt lgkmcnt(0)
	v_mul_hi_u32 v0, s45, v40
	v_add_u32_e32 v0, v40, v0
	v_lshrrev_b32_e32 v0, s46, v0
	v_mul_lo_u32 v1, v0, s44
	v_sub_u32_e32 v1, v40, v1
	v_mul_lo_u32 v2, v1, s41
	s_andn2_b64 vcc, exec, s[56:57]
	v_mul_lo_u32 v38, v1, s40
	s_cbranch_vccnz .LBB11_159
; %bb.158:
	v_mul_hi_u32 v1, s54, v0
	v_add_u32_e32 v1, v0, v1
	v_lshrrev_b32_e32 v1, s55, v1
	v_mul_lo_u32 v1, v1, s47
	v_sub_u32_e32 v0, v0, v1
	v_mad_u64_u32 v[38:39], s[0:1], v0, s42, v[38:39]
	v_mad_u64_u32 v[2:3], s[0:1], v0, s43, v[2:3]
.LBB11_159:
	s_getpc_b64 s[0:1]
	s_add_u32 s0, s0, _ZN2at6native6invokeIZZZNS0_12_GLOBAL__N_121bessel_y1_kernel_cudaERNS_18TensorIteratorBaseEENKUlvE_clEvENKUlvE_clEvEUldE_j15function_traitsIS7_EEENT1_11result_typeERKT_PrKPcPKT0_PKN3c1010ScalarTypeEi@rel32@lo+4
	s_addc_u32 s1, s1, _ZN2at6native6invokeIZZZNS0_12_GLOBAL__N_121bessel_y1_kernel_cudaERNS_18TensorIteratorBaseEENKUlvE_clEvENKUlvE_clEvEUldE_j15function_traitsIS7_EEENT1_11result_typeERKT_PrKPcPKT0_PKN3c1010ScalarTypeEi@rel32@hi+12
	s_waitcnt lgkmcnt(0)
	v_mov_b32_e32 v0, s38
	v_mov_b32_e32 v1, s39
	;; [unrolled: 1-line block ×3, first 2 shown]
	s_swappc_b64 s[30:31], s[0:1]
	v_mov_b32_e32 v39, 0
	s_and_b32 s8, s77, 0xff
	s_cmp_lt_i32 s8, 11
	v_lshl_add_u64 v[4:5], s[36:37], 0, v[38:39]
	s_cbranch_scc1 .LBB11_166
; %bb.160:
	s_and_b32 s9, 0xffff, s8
	s_cmp_gt_i32 s9, 25
	s_cbranch_scc0 .LBB11_169
; %bb.161:
	s_cmp_gt_i32 s9, 28
	s_cbranch_scc0 .LBB11_170
; %bb.162:
	;; [unrolled: 3-line block ×4, first 2 shown]
	s_mov_b64 s[4:5], 0
	s_mov_b64 s[0:1], -1
	s_cmp_eq_u32 s9, 46
	s_mov_b64 s[2:3], 0
	s_cbranch_scc0 .LBB11_177
; %bb.165:
	v_cvt_f32_f64_e32 v2, v[0:1]
	v_bfe_u32 v3, v2, 16, 1
	s_movk_i32 s0, 0x7fff
	v_add3_u32 v3, v2, v3, s0
	v_cmp_o_f32_e32 vcc, v2, v2
	v_mov_b32_e32 v2, 0x7fc0
	s_mov_b64 s[2:3], -1
	v_cndmask_b32_sdwa v2, v2, v3, vcc dst_sel:DWORD dst_unused:UNUSED_PAD src0_sel:DWORD src1_sel:WORD_1
	global_store_dword v[4:5], v2, off
	s_mov_b64 s[0:1], 0
	s_branch .LBB11_177
.LBB11_166:
	s_mov_b64 s[2:3], 0
	s_mov_b64 s[0:1], s[62:63]
	s_cbranch_execnz .LBB11_246
.LBB11_167:
	s_andn2_b64 vcc, exec, s[2:3]
	s_cbranch_vccnz .LBB11_284
.LBB11_168:
	v_add_u32_e32 v40, 0x80, v40
	s_mov_b64 s[2:3], -1
	s_branch .LBB11_285
.LBB11_169:
	s_mov_b64 s[4:5], -1
	s_mov_b64 s[2:3], 0
	s_mov_b64 s[0:1], s[62:63]
	s_branch .LBB11_204
.LBB11_170:
	s_mov_b64 s[4:5], -1
	s_mov_b64 s[2:3], 0
	s_mov_b64 s[0:1], s[62:63]
	s_branch .LBB11_187
.LBB11_171:
	s_andn2_saveexec_b64 s[6:7], s[6:7]
	s_cbranch_execz .LBB11_52
.LBB11_172:
	s_mov_b32 s10, 0x46000000
	v_add_f32_e64 v3, |v2|, s10
	v_and_b32_e32 v3, 0xff, v3
	v_cmp_ne_u32_e32 vcc, 0, v3
	s_andn2_b64 s[4:5], s[4:5], exec
	s_and_b64 s[10:11], vcc, exec
	s_or_b64 s[4:5], s[4:5], s[10:11]
	s_or_b64 exec, exec, s[6:7]
	v_mov_b32_e32 v6, 0
	s_and_saveexec_b64 s[6:7], s[4:5]
	s_cbranch_execnz .LBB11_53
	s_branch .LBB11_54
.LBB11_173:
	s_mov_b64 s[4:5], -1
	s_mov_b64 s[2:3], 0
	s_mov_b64 s[0:1], s[62:63]
	s_branch .LBB11_183
.LBB11_174:
	s_andn2_saveexec_b64 s[6:7], s[6:7]
	s_cbranch_execz .LBB11_64
.LBB11_175:
	s_mov_b32 s10, 0x42800000
	v_add_f32_e64 v3, |v2|, s10
	v_and_b32_e32 v3, 0xff, v3
	v_cmp_ne_u32_e32 vcc, 0, v3
	s_andn2_b64 s[4:5], s[4:5], exec
	s_and_b64 s[10:11], vcc, exec
	s_or_b64 s[4:5], s[4:5], s[10:11]
	s_or_b64 exec, exec, s[6:7]
	v_mov_b32_e32 v6, 0
	s_and_saveexec_b64 s[6:7], s[4:5]
	s_cbranch_execnz .LBB11_65
	s_branch .LBB11_66
.LBB11_176:
	s_mov_b64 s[4:5], -1
	s_mov_b64 s[2:3], 0
	s_mov_b64 s[0:1], s[62:63]
.LBB11_177:
	s_and_b64 vcc, exec, s[4:5]
	s_cbranch_vccz .LBB11_182
; %bb.178:
	s_cmp_eq_u32 s9, 44
	s_mov_b64 s[0:1], -1
	s_cbranch_scc0 .LBB11_182
; %bb.179:
	v_cvt_f32_f64_e32 v2, v[0:1]
	v_bfe_u32 v3, v2, 23, 8
	s_movk_i32 s0, 0xff
	v_cmp_ne_u32_e32 vcc, s0, v3
	v_mov_b32_e32 v6, 0xff
	s_and_saveexec_b64 s[2:3], vcc
; %bb.180:
	s_mov_b32 s0, 0x3fffff
	v_lshrrev_b32_e32 v6, 23, v2
	v_and_b32_e32 v7, 0x400000, v2
	v_and_or_b32 v2, v2, s0, v3
	v_cmp_ne_u32_e32 vcc, 0, v7
	v_cmp_ne_u32_e64 s[0:1], 0, v2
	s_and_b64 s[0:1], vcc, s[0:1]
	s_nop 0
	v_cndmask_b32_e64 v2, 0, 1, s[0:1]
	v_add_u32_e32 v6, v6, v2
; %bb.181:
	s_or_b64 exec, exec, s[2:3]
	s_mov_b64 s[2:3], -1
	s_mov_b64 s[0:1], 0
	global_store_byte v[4:5], v6, off
.LBB11_182:
	s_mov_b64 s[4:5], 0
.LBB11_183:
	s_and_b64 vcc, exec, s[4:5]
	s_cbranch_vccz .LBB11_186
; %bb.184:
	s_cmp_eq_u32 s9, 29
	s_mov_b64 s[0:1], -1
	s_cbranch_scc0 .LBB11_186
; %bb.185:
	v_trunc_f64_e32 v[2:3], v[0:1]
	s_movk_i32 s0, 0xffe0
	v_ldexp_f64 v[6:7], v[2:3], s0
	v_floor_f64_e32 v[6:7], v[6:7]
	v_fmac_f64_e32 v[2:3], 0xc1f00000, v[6:7]
	v_cvt_u32_f64_e32 v9, v[6:7]
	v_cvt_u32_f64_e32 v8, v[2:3]
	global_store_dwordx2 v[4:5], v[8:9], off
	s_mov_b64 s[2:3], -1
	s_mov_b64 s[0:1], 0
.LBB11_186:
	s_mov_b64 s[4:5], 0
.LBB11_187:
	s_and_b64 vcc, exec, s[4:5]
	s_cbranch_vccz .LBB11_203
; %bb.188:
	s_cmp_lt_i32 s9, 27
	s_mov_b64 s[2:3], -1
	s_cbranch_scc1 .LBB11_194
; %bb.189:
	s_cmp_gt_i32 s9, 27
	v_cvt_u32_f64_e32 v2, v[0:1]
	s_cbranch_scc0 .LBB11_191
; %bb.190:
	s_mov_b64 s[2:3], 0
	global_store_dword v[4:5], v2, off
.LBB11_191:
	s_andn2_b64 vcc, exec, s[2:3]
	s_cbranch_vccnz .LBB11_193
; %bb.192:
	global_store_short v[4:5], v2, off
.LBB11_193:
	s_mov_b64 s[2:3], 0
.LBB11_194:
	s_andn2_b64 vcc, exec, s[2:3]
	s_cbranch_vccnz .LBB11_202
; %bb.195:
	v_cvt_f32_f64_e32 v2, v[0:1]
	v_and_b32_e32 v3, 0x7fffffff, v2
	s_mov_b32 s2, 0x43800000
	v_cmp_gt_u32_e32 vcc, s2, v3
	v_mov_b32_e32 v6, 0x80
	s_and_saveexec_b64 s[2:3], vcc
	s_cbranch_execz .LBB11_201
; %bb.196:
	s_mov_b32 s4, 0x3bffffff
	v_cmp_lt_u32_e32 vcc, s4, v3
	s_mov_b64 s[4:5], 0
                                        ; implicit-def: $vgpr3
	s_and_saveexec_b64 s[6:7], vcc
	s_xor_b64 s[6:7], exec, s[6:7]
	s_cbranch_execz .LBB11_314
; %bb.197:
	v_bfe_u32 v3, v2, 20, 1
	s_mov_b32 s10, 0x487ffff
	v_add3_u32 v3, v2, v3, s10
	s_mov_b64 s[4:5], exec
	v_lshrrev_b32_e32 v3, 20, v3
	s_andn2_saveexec_b64 s[6:7], s[6:7]
	s_cbranch_execnz .LBB11_315
.LBB11_198:
	s_or_b64 exec, exec, s[6:7]
	v_mov_b32_e32 v6, 0
	s_and_saveexec_b64 s[6:7], s[4:5]
.LBB11_199:
	v_lshrrev_b32_e32 v2, 24, v2
	s_movk_i32 s4, 0x80
	v_and_or_b32 v6, v2, s4, v3
.LBB11_200:
	s_or_b64 exec, exec, s[6:7]
.LBB11_201:
	s_or_b64 exec, exec, s[2:3]
	global_store_byte v[4:5], v6, off
.LBB11_202:
	s_mov_b64 s[2:3], -1
.LBB11_203:
	s_mov_b64 s[4:5], 0
.LBB11_204:
	s_and_b64 vcc, exec, s[4:5]
	s_cbranch_vccz .LBB11_245
; %bb.205:
	s_cmp_gt_i32 s9, 22
	s_mov_b64 s[4:5], -1
	s_cbranch_scc0 .LBB11_237
; %bb.206:
	s_cmp_lt_i32 s9, 24
	s_mov_b64 s[2:3], -1
	s_cbranch_scc1 .LBB11_226
; %bb.207:
	s_cmp_gt_i32 s9, 24
	s_cbranch_scc0 .LBB11_215
; %bb.208:
	v_cvt_f32_f64_e32 v2, v[0:1]
	v_and_b32_e32 v3, 0x7fffffff, v2
	s_mov_b32 s2, 0x47800000
	v_cmp_gt_u32_e32 vcc, s2, v3
	v_mov_b32_e32 v6, 0x80
	s_and_saveexec_b64 s[2:3], vcc
	s_cbranch_execz .LBB11_214
; %bb.209:
	s_mov_b32 s4, 0x37ffffff
	v_cmp_lt_u32_e32 vcc, s4, v3
	s_mov_b64 s[4:5], 0
                                        ; implicit-def: $vgpr3
	s_and_saveexec_b64 s[6:7], vcc
	s_xor_b64 s[6:7], exec, s[6:7]
	s_cbranch_execz .LBB11_317
; %bb.210:
	v_bfe_u32 v3, v2, 21, 1
	s_mov_b32 s10, 0x88fffff
	v_add3_u32 v3, v2, v3, s10
	s_mov_b64 s[4:5], exec
	v_lshrrev_b32_e32 v3, 21, v3
	s_andn2_saveexec_b64 s[6:7], s[6:7]
	s_cbranch_execnz .LBB11_318
.LBB11_211:
	s_or_b64 exec, exec, s[6:7]
	v_mov_b32_e32 v6, 0
	s_and_saveexec_b64 s[6:7], s[4:5]
.LBB11_212:
	v_lshrrev_b32_e32 v2, 24, v2
	s_movk_i32 s4, 0x80
	v_and_or_b32 v6, v2, s4, v3
.LBB11_213:
	s_or_b64 exec, exec, s[6:7]
.LBB11_214:
	s_or_b64 exec, exec, s[2:3]
	s_mov_b64 s[2:3], 0
	global_store_byte v[4:5], v6, off
.LBB11_215:
	s_and_b64 vcc, exec, s[2:3]
	s_cbranch_vccz .LBB11_225
; %bb.216:
	v_cvt_f32_f64_e32 v2, v[0:1]
	v_and_b32_e32 v6, 0x7fffffff, v2
	s_mov_b32 s2, 0x43f00000
	v_cmp_gt_u32_e32 vcc, s2, v6
                                        ; implicit-def: $vgpr3
	s_and_saveexec_b64 s[2:3], vcc
	s_xor_b64 s[2:3], exec, s[2:3]
	s_cbranch_execz .LBB11_222
; %bb.217:
	s_mov_b32 s4, 0x3c7fffff
	v_cmp_lt_u32_e32 vcc, s4, v6
                                        ; implicit-def: $vgpr3
	s_and_saveexec_b64 s[4:5], vcc
	s_xor_b64 s[4:5], exec, s[4:5]
; %bb.218:
	v_bfe_u32 v3, v2, 20, 1
	s_mov_b32 s6, 0x407ffff
	v_add3_u32 v3, v2, v3, s6
	v_lshrrev_b32_e32 v6, 20, v3
	v_and_b32_e32 v3, 0xff00000, v3
	s_mov_b32 s6, 0x7f00000
	v_mov_b32_e32 v7, 0x7e
	v_cmp_ne_u32_e32 vcc, s6, v3
	s_nop 1
	v_cndmask_b32_e32 v3, v7, v6, vcc
; %bb.219:
	s_andn2_saveexec_b64 s[4:5], s[4:5]
; %bb.220:
	s_mov_b32 s6, 0x46800000
	v_add_f32_e64 v3, |v2|, s6
; %bb.221:
	s_or_b64 exec, exec, s[4:5]
                                        ; implicit-def: $vgpr6
.LBB11_222:
	s_andn2_saveexec_b64 s[2:3], s[2:3]
; %bb.223:
	s_mov_b32 s4, 0x7f800000
	v_mov_b32_e32 v3, 0x7e
	v_mov_b32_e32 v7, 0x7f
	v_cmp_lt_u32_e32 vcc, s4, v6
	s_nop 1
	v_cndmask_b32_e32 v3, v3, v7, vcc
; %bb.224:
	s_or_b64 exec, exec, s[2:3]
	v_lshrrev_b32_e32 v2, 24, v2
	s_movk_i32 s2, 0x80
	v_and_or_b32 v2, v2, s2, v3
	global_store_byte v[4:5], v2, off
.LBB11_225:
	s_mov_b64 s[2:3], 0
.LBB11_226:
	s_andn2_b64 vcc, exec, s[2:3]
	s_cbranch_vccnz .LBB11_236
; %bb.227:
	v_cvt_f32_f64_e32 v2, v[0:1]
	v_and_b32_e32 v6, 0x7fffffff, v2
	s_mov_b32 s2, 0x47800000
	v_cmp_gt_u32_e32 vcc, s2, v6
                                        ; implicit-def: $vgpr3
	s_and_saveexec_b64 s[2:3], vcc
	s_xor_b64 s[2:3], exec, s[2:3]
	s_cbranch_execz .LBB11_233
; %bb.228:
	s_mov_b32 s4, 0x387fffff
	v_cmp_lt_u32_e32 vcc, s4, v6
                                        ; implicit-def: $vgpr3
	s_and_saveexec_b64 s[4:5], vcc
	s_xor_b64 s[4:5], exec, s[4:5]
; %bb.229:
	v_bfe_u32 v3, v2, 21, 1
	s_mov_b32 s6, 0x80fffff
	v_add3_u32 v3, v2, v3, s6
	v_lshrrev_b32_e32 v3, 21, v3
; %bb.230:
	s_andn2_saveexec_b64 s[4:5], s[4:5]
; %bb.231:
	s_mov_b32 s6, 0x43000000
	v_add_f32_e64 v3, |v2|, s6
; %bb.232:
	s_or_b64 exec, exec, s[4:5]
                                        ; implicit-def: $vgpr6
.LBB11_233:
	s_andn2_saveexec_b64 s[2:3], s[2:3]
; %bb.234:
	s_mov_b32 s4, 0x7f800000
	v_mov_b32_e32 v3, 0x7c
	v_mov_b32_e32 v7, 0x7f
	v_cmp_lt_u32_e32 vcc, s4, v6
	s_nop 1
	v_cndmask_b32_e32 v3, v3, v7, vcc
; %bb.235:
	s_or_b64 exec, exec, s[2:3]
	v_lshrrev_b32_e32 v2, 24, v2
	s_movk_i32 s2, 0x80
	v_and_or_b32 v2, v2, s2, v3
	global_store_byte v[4:5], v2, off
.LBB11_236:
	s_mov_b64 s[4:5], 0
	s_mov_b64 s[2:3], -1
.LBB11_237:
	s_andn2_b64 vcc, exec, s[4:5]
	s_cbranch_vccnz .LBB11_245
; %bb.238:
	s_cmp_gt_i32 s9, 14
	s_mov_b64 s[4:5], -1
	s_cbranch_scc0 .LBB11_242
; %bb.239:
	s_cmp_eq_u32 s9, 15
	s_mov_b64 s[0:1], -1
	s_cbranch_scc0 .LBB11_241
; %bb.240:
	v_cvt_f32_f64_e32 v2, v[0:1]
	v_bfe_u32 v3, v2, 16, 1
	s_movk_i32 s0, 0x7fff
	v_add3_u32 v3, v2, v3, s0
	v_cmp_o_f32_e32 vcc, v2, v2
	v_mov_b32_e32 v2, 0x7fc0
	s_mov_b64 s[2:3], -1
	v_cndmask_b32_sdwa v2, v2, v3, vcc dst_sel:DWORD dst_unused:UNUSED_PAD src0_sel:DWORD src1_sel:WORD_1
	global_store_short v[4:5], v2, off
	s_mov_b64 s[0:1], 0
.LBB11_241:
	s_mov_b64 s[4:5], 0
.LBB11_242:
	s_and_b64 vcc, exec, s[4:5]
	s_cbranch_vccz .LBB11_245
; %bb.243:
	s_cmp_eq_u32 s9, 11
	s_mov_b64 s[0:1], -1
	s_cbranch_scc0 .LBB11_245
; %bb.244:
	v_cmp_neq_f64_e32 vcc, 0, v[0:1]
	s_mov_b64 s[0:1], 0
	s_mov_b64 s[2:3], -1
	v_cndmask_b32_e64 v2, 0, 1, vcc
	global_store_byte v[4:5], v2, off
.LBB11_245:
	s_branch .LBB11_167
.LBB11_246:
	s_and_b32 s4, 0xffff, s8
	s_cmp_lt_i32 s4, 5
	s_mov_b64 s[2:3], -1
	s_cbranch_scc1 .LBB11_267
; %bb.247:
	s_cmp_lt_i32 s4, 8
	s_cbranch_scc1 .LBB11_257
; %bb.248:
	s_cmp_lt_i32 s4, 9
	s_cbranch_scc1 .LBB11_254
; %bb.249:
	s_cmp_gt_i32 s4, 9
	s_cbranch_scc0 .LBB11_251
; %bb.250:
	v_mov_b32_e32 v2, 0
	v_mov_b32_e32 v3, v2
	s_mov_b64 s[2:3], 0
	global_store_dwordx4 v[4:5], v[0:3], off
.LBB11_251:
	s_andn2_b64 vcc, exec, s[2:3]
	s_cbranch_vccnz .LBB11_253
; %bb.252:
	v_cvt_f32_f64_e32 v2, v[0:1]
	v_mov_b32_e32 v3, 0
	global_store_dwordx2 v[4:5], v[2:3], off
.LBB11_253:
	s_mov_b64 s[2:3], 0
.LBB11_254:
	s_andn2_b64 vcc, exec, s[2:3]
	s_cbranch_vccnz .LBB11_256
; %bb.255:
	s_movk_i32 s2, 0x1ff
	v_and_or_b32 v2, v1, s2, v0
	v_cmp_ne_u32_e32 vcc, 0, v2
	v_lshrrev_b32_e32 v3, 8, v1
	s_movk_i32 s2, 0xffe
	v_cndmask_b32_e64 v2, 0, 1, vcc
	v_bfe_u32 v6, v1, 20, 11
	v_and_or_b32 v2, v3, s2, v2
	v_sub_u32_e32 v7, 0x3f1, v6
	v_or_b32_e32 v3, 0x1000, v2
	v_med3_i32 v7, v7, 0, 13
	v_lshrrev_b32_e32 v8, v7, v3
	v_lshlrev_b32_e32 v7, v7, v8
	v_cmp_ne_u32_e32 vcc, v7, v3
	v_add_u32_e32 v6, 0xfffffc10, v6
	v_lshl_or_b32 v7, v6, 12, v2
	v_cndmask_b32_e64 v3, 0, 1, vcc
	v_or_b32_e32 v3, v8, v3
	v_cmp_gt_i32_e32 vcc, 1, v6
	s_movk_i32 s2, 0x40f
	s_nop 0
	v_cndmask_b32_e32 v3, v7, v3, vcc
	v_and_b32_e32 v7, 7, v3
	v_cmp_lt_i32_e32 vcc, 5, v7
	v_lshrrev_b32_e32 v3, 2, v3
	s_nop 0
	v_cndmask_b32_e64 v8, 0, 1, vcc
	v_cmp_eq_u32_e32 vcc, 3, v7
	s_nop 1
	v_cndmask_b32_e64 v7, 0, 1, vcc
	v_or_b32_e32 v7, v7, v8
	v_add_u32_e32 v3, v3, v7
	v_mov_b32_e32 v7, 0x7c00
	v_cmp_gt_i32_e32 vcc, 31, v6
	v_mov_b32_e32 v8, 0x7e00
	s_nop 0
	v_cndmask_b32_e32 v3, v7, v3, vcc
	v_cmp_ne_u32_e32 vcc, 0, v2
	s_nop 1
	v_cndmask_b32_e32 v2, v7, v8, vcc
	v_cmp_eq_u32_e32 vcc, s2, v6
	s_mov_b32 s2, 0x8000
	s_nop 0
	v_cndmask_b32_e32 v2, v3, v2, vcc
	v_and_b32_sdwa v3, v1, s2 dst_sel:DWORD dst_unused:UNUSED_PAD src0_sel:WORD_1 src1_sel:DWORD
	s_mov_b32 s2, 0xffff
	v_bitop3_b32 v2, v3, s2, v2 bitop3:0xc8
	global_store_dword v[4:5], v2, off
.LBB11_256:
	s_mov_b64 s[2:3], 0
.LBB11_257:
	s_andn2_b64 vcc, exec, s[2:3]
	s_cbranch_vccnz .LBB11_266
; %bb.258:
	s_cmp_lt_i32 s4, 6
	s_mov_b64 s[2:3], -1
	s_cbranch_scc1 .LBB11_264
; %bb.259:
	s_cmp_gt_i32 s4, 6
	s_cbranch_scc0 .LBB11_261
; %bb.260:
	s_mov_b64 s[2:3], 0
	global_store_dwordx2 v[4:5], v[0:1], off
.LBB11_261:
	s_andn2_b64 vcc, exec, s[2:3]
	s_cbranch_vccnz .LBB11_263
; %bb.262:
	v_cvt_f32_f64_e32 v2, v[0:1]
	global_store_dword v[4:5], v2, off
.LBB11_263:
	s_mov_b64 s[2:3], 0
.LBB11_264:
	s_andn2_b64 vcc, exec, s[2:3]
	s_cbranch_vccnz .LBB11_266
; %bb.265:
	s_movk_i32 s2, 0x1ff
	v_and_or_b32 v2, v1, s2, v0
	v_cmp_ne_u32_e32 vcc, 0, v2
	v_lshrrev_b32_e32 v3, 8, v1
	s_movk_i32 s2, 0xffe
	v_cndmask_b32_e64 v2, 0, 1, vcc
	v_bfe_u32 v6, v1, 20, 11
	v_and_or_b32 v2, v3, s2, v2
	v_sub_u32_e32 v7, 0x3f1, v6
	v_or_b32_e32 v3, 0x1000, v2
	v_med3_i32 v7, v7, 0, 13
	v_lshrrev_b32_e32 v8, v7, v3
	v_lshlrev_b32_e32 v7, v7, v8
	v_cmp_ne_u32_e32 vcc, v7, v3
	v_add_u32_e32 v6, 0xfffffc10, v6
	v_lshl_or_b32 v7, v6, 12, v2
	v_cndmask_b32_e64 v3, 0, 1, vcc
	v_or_b32_e32 v3, v8, v3
	v_cmp_gt_i32_e32 vcc, 1, v6
	s_movk_i32 s2, 0x40f
	s_nop 0
	v_cndmask_b32_e32 v3, v7, v3, vcc
	v_and_b32_e32 v7, 7, v3
	v_cmp_lt_i32_e32 vcc, 5, v7
	v_lshrrev_b32_e32 v3, 2, v3
	s_nop 0
	v_cndmask_b32_e64 v8, 0, 1, vcc
	v_cmp_eq_u32_e32 vcc, 3, v7
	s_nop 1
	v_cndmask_b32_e64 v7, 0, 1, vcc
	v_or_b32_e32 v7, v7, v8
	v_add_u32_e32 v3, v3, v7
	v_mov_b32_e32 v7, 0x7c00
	v_cmp_gt_i32_e32 vcc, 31, v6
	v_mov_b32_e32 v8, 0x7e00
	s_nop 0
	v_cndmask_b32_e32 v3, v7, v3, vcc
	v_cmp_ne_u32_e32 vcc, 0, v2
	s_nop 1
	v_cndmask_b32_e32 v2, v7, v8, vcc
	v_cmp_eq_u32_e32 vcc, s2, v6
	s_mov_b32 s2, 0x8000
	s_nop 0
	v_cndmask_b32_e32 v2, v3, v2, vcc
	v_lshrrev_b32_e32 v3, 16, v1
	v_and_or_b32 v2, v3, s2, v2
	global_store_short v[4:5], v2, off
.LBB11_266:
	s_mov_b64 s[2:3], 0
.LBB11_267:
	s_andn2_b64 vcc, exec, s[2:3]
	s_cbranch_vccnz .LBB11_283
; %bb.268:
	s_cmp_lt_i32 s4, 2
	s_mov_b64 s[2:3], -1
	s_cbranch_scc1 .LBB11_278
; %bb.269:
	s_cmp_lt_i32 s4, 3
	s_cbranch_scc1 .LBB11_275
; %bb.270:
	s_cmp_gt_i32 s4, 3
	s_cbranch_scc0 .LBB11_272
; %bb.271:
	v_trunc_f64_e32 v[2:3], v[0:1]
	s_movk_i32 s2, 0xffe0
	v_ldexp_f64 v[6:7], v[2:3], s2
	v_floor_f64_e32 v[6:7], v[6:7]
	v_fmac_f64_e32 v[2:3], 0xc1f00000, v[6:7]
	v_cvt_i32_f64_e32 v9, v[6:7]
	v_cvt_u32_f64_e32 v8, v[2:3]
	s_mov_b64 s[2:3], 0
	global_store_dwordx2 v[4:5], v[8:9], off
.LBB11_272:
	s_andn2_b64 vcc, exec, s[2:3]
	s_cbranch_vccnz .LBB11_274
; %bb.273:
	v_cvt_i32_f64_e32 v2, v[0:1]
	global_store_dword v[4:5], v2, off
.LBB11_274:
	s_mov_b64 s[2:3], 0
.LBB11_275:
	s_andn2_b64 vcc, exec, s[2:3]
	s_cbranch_vccnz .LBB11_277
; %bb.276:
	v_cvt_i32_f64_e32 v2, v[0:1]
	global_store_short v[4:5], v2, off
.LBB11_277:
	s_mov_b64 s[2:3], 0
.LBB11_278:
	s_andn2_b64 vcc, exec, s[2:3]
	s_cbranch_vccnz .LBB11_283
; %bb.279:
	s_cmp_gt_i32 s4, 0
	s_mov_b64 s[2:3], -1
	s_cbranch_scc0 .LBB11_281
; %bb.280:
	v_cvt_i32_f64_e32 v2, v[0:1]
	s_mov_b64 s[2:3], 0
	global_store_byte v[4:5], v2, off
.LBB11_281:
	s_andn2_b64 vcc, exec, s[2:3]
	s_cbranch_vccnz .LBB11_283
; %bb.282:
	v_trunc_f64_e32 v[0:1], v[0:1]
	s_movk_i32 s2, 0xffe0
	v_ldexp_f64 v[2:3], v[0:1], s2
	v_floor_f64_e32 v[2:3], v[2:3]
	v_fmac_f64_e32 v[0:1], 0xc1f00000, v[2:3]
	v_cvt_u32_f64_e32 v0, v[0:1]
	global_store_byte v[4:5], v0, off
.LBB11_283:
	s_branch .LBB11_168
.LBB11_284:
	s_mov_b64 s[2:3], 0
                                        ; implicit-def: $vgpr40
.LBB11_285:
	s_andn2_b64 s[4:5], s[62:63], exec
	s_and_b64 s[0:1], s[0:1], exec
	s_or_b64 s[66:67], s[4:5], s[0:1]
	s_orn2_b64 s[4:5], s[2:3], exec
.LBB11_286:
	s_or_b64 exec, exec, s[68:69]
	s_mov_b64 s[0:1], 0
	s_mov_b64 s[2:3], 0
                                        ; implicit-def: $sgpr10
                                        ; implicit-def: $vgpr4_vgpr5
                                        ; implicit-def: $vgpr0_vgpr1
	s_and_saveexec_b64 s[68:69], s[4:5]
	s_cbranch_execz .LBB11_529
; %bb.287:
	v_cmp_gt_i32_e32 vcc, s74, v40
	s_mov_b64 s[2:3], -1
	s_mov_b64 s[72:73], s[66:67]
	s_and_saveexec_b64 s[70:71], vcc
	s_cbranch_execz .LBB11_432
; %bb.288:
	s_andn2_b64 vcc, exec, s[50:51]
	s_cbranch_vccnz .LBB11_294
; %bb.289:
	s_andn2_b64 vcc, exec, s[60:61]
	s_cbranch_vccnz .LBB11_295
; %bb.290:
	s_add_i32 s25, s78, 1
	s_cmp_eq_u32 s76, 2
	s_cbranch_scc1 .LBB11_296
; %bb.291:
	s_and_b32 s24, s25, 28
	s_mov_b32 s26, 0
	v_mov_b32_e32 v38, 0
	v_mov_b32_e32 v2, 0
	s_mov_b64 s[20:21], s[34:35]
	s_mov_b64 s[22:23], s[58:59]
	v_mov_b32_e32 v0, v40
.LBB11_292:                             ; =>This Inner Loop Header: Depth=1
	s_load_dwordx8 s[8:15], s[20:21], 0x4
	s_load_dwordx4 s[16:19], s[20:21], 0x24
	s_load_dwordx8 s[0:7], s[22:23], 0x0
	s_add_u32 s20, s20, 48
	s_addc_u32 s21, s21, 0
	s_waitcnt lgkmcnt(0)
	v_mul_hi_u32 v1, s9, v0
	v_add_u32_e32 v1, v0, v1
	v_lshrrev_b32_e32 v1, s10, v1
	v_mul_lo_u32 v3, v1, s8
	v_mul_hi_u32 v4, s12, v1
	v_sub_u32_e32 v0, v0, v3
	v_add_u32_e32 v3, v1, v4
	v_lshrrev_b32_e32 v3, s13, v3
	v_mul_lo_u32 v5, v3, s11
	v_mul_hi_u32 v6, s15, v3
	v_sub_u32_e32 v1, v1, v5
	v_add_u32_e32 v5, v3, v6
	v_mul_lo_u32 v4, v0, s1
	v_mul_lo_u32 v0, v0, s0
	;; [unrolled: 1-line block ×4, first 2 shown]
	v_lshrrev_b32_e32 v5, s16, v5
	v_add3_u32 v1, v0, v38, v1
	v_add3_u32 v2, v4, v2, v6
	v_mul_lo_u32 v0, v5, s14
	v_mul_hi_u32 v4, s18, v5
	v_sub_u32_e32 v0, v3, v0
	v_add_u32_e32 v3, v5, v4
	v_mul_lo_u32 v4, v0, s4
	v_mul_lo_u32 v6, v0, s5
	v_lshrrev_b32_e32 v0, s19, v3
	s_add_i32 s26, s26, 4
	v_mul_lo_u32 v3, v0, s17
	s_add_u32 s22, s22, 32
	v_sub_u32_e32 v3, v5, v3
	s_addc_u32 s23, s23, 0
	v_mul_lo_u32 v5, v3, s6
	v_mul_lo_u32 v3, v3, s7
	s_cmp_eq_u32 s24, s26
	v_add3_u32 v2, v6, v2, v3
	v_add3_u32 v38, v4, v1, v5
	s_cbranch_scc0 .LBB11_292
; %bb.293:
	v_mov_b32_e32 v1, v2
	s_branch .LBB11_297
.LBB11_294:
	s_mov_b64 s[0:1], -1
                                        ; implicit-def: $vgpr2
                                        ; implicit-def: $vgpr38
	s_branch .LBB11_301
.LBB11_295:
	v_mov_b32_e32 v2, 0
	v_mov_b32_e32 v38, 0
	s_branch .LBB11_300
.LBB11_296:
	v_mov_b32_e32 v38, 0
	s_mov_b32 s24, 0
	v_mov_b32_e32 v1, v38
                                        ; implicit-def: $vgpr2
	v_mov_b32_e32 v0, v40
.LBB11_297:
	s_and_b32 s4, s25, 3
	s_cmp_eq_u32 s4, 0
	s_cbranch_scc1 .LBB11_300
; %bb.298:
	s_lshl_b32 s0, s24, 3
	s_add_u32 s0, s34, s0
	s_addc_u32 s1, s35, 0
	s_add_u32 s0, s0, 0xc4
	s_addc_u32 s1, s1, 0
	s_mul_i32 s2, s24, 12
	s_add_u32 s2, s34, s2
	s_addc_u32 s3, s35, 0
.LBB11_299:                             ; =>This Inner Loop Header: Depth=1
	s_load_dwordx2 s[6:7], s[2:3], 0x4
	s_load_dword s5, s[2:3], 0xc
	s_load_dwordx2 s[8:9], s[0:1], 0x0
	v_mov_b32_e32 v2, v1
	s_add_u32 s2, s2, 12
	s_waitcnt lgkmcnt(0)
	v_mul_hi_u32 v1, s7, v0
	v_add_u32_e32 v1, v0, v1
	v_lshrrev_b32_e32 v1, s5, v1
	s_addc_u32 s3, s3, 0
	v_mul_lo_u32 v3, v1, s6
	s_add_u32 s0, s0, 8
	v_sub_u32_e32 v4, v0, v3
	s_addc_u32 s1, s1, 0
	s_add_i32 s4, s4, -1
	v_mad_u64_u32 v[2:3], s[6:7], v4, s9, v[2:3]
	s_cmp_lg_u32 s4, 0
	v_mov_b32_e32 v0, v1
	v_mad_u64_u32 v[38:39], s[6:7], v4, s8, v[38:39]
	v_mov_b32_e32 v1, v2
	s_cbranch_scc1 .LBB11_299
.LBB11_300:
	s_mov_b64 s[0:1], 0
.LBB11_301:
	s_andn2_b64 vcc, exec, s[0:1]
	s_cbranch_vccnz .LBB11_304
; %bb.302:
	s_waitcnt lgkmcnt(0)
	v_mul_hi_u32 v0, s45, v40
	v_add_u32_e32 v0, v40, v0
	v_lshrrev_b32_e32 v0, s46, v0
	v_mul_lo_u32 v1, v0, s44
	v_sub_u32_e32 v1, v40, v1
	v_mul_lo_u32 v2, v1, s41
	s_andn2_b64 vcc, exec, s[56:57]
	v_mul_lo_u32 v38, v1, s40
	s_cbranch_vccnz .LBB11_304
; %bb.303:
	v_mul_hi_u32 v1, s54, v0
	v_add_u32_e32 v1, v0, v1
	v_lshrrev_b32_e32 v1, s55, v1
	v_mul_lo_u32 v1, v1, s47
	v_sub_u32_e32 v0, v0, v1
	v_mad_u64_u32 v[38:39], s[0:1], v0, s42, v[38:39]
	v_mad_u64_u32 v[2:3], s[0:1], v0, s43, v[2:3]
.LBB11_304:
	s_getpc_b64 s[0:1]
	s_add_u32 s0, s0, _ZN2at6native6invokeIZZZNS0_12_GLOBAL__N_121bessel_y1_kernel_cudaERNS_18TensorIteratorBaseEENKUlvE_clEvENKUlvE_clEvEUldE_j15function_traitsIS7_EEENT1_11result_typeERKT_PrKPcPKT0_PKN3c1010ScalarTypeEi@rel32@lo+4
	s_addc_u32 s1, s1, _ZN2at6native6invokeIZZZNS0_12_GLOBAL__N_121bessel_y1_kernel_cudaERNS_18TensorIteratorBaseEENKUlvE_clEvENKUlvE_clEvEUldE_j15function_traitsIS7_EEENT1_11result_typeERKT_PrKPcPKT0_PKN3c1010ScalarTypeEi@rel32@hi+12
	s_waitcnt lgkmcnt(0)
	v_mov_b32_e32 v0, s38
	v_mov_b32_e32 v1, s39
	v_mov_b32_e32 v3, v36
	s_swappc_b64 s[30:31], s[0:1]
	v_mov_b32_e32 v39, 0
	s_and_b32 s8, s77, 0xff
	s_cmp_lt_i32 s8, 11
	v_lshl_add_u64 v[4:5], s[36:37], 0, v[38:39]
	s_cbranch_scc1 .LBB11_311
; %bb.305:
	s_and_b32 s9, 0xffff, s8
	s_cmp_gt_i32 s9, 25
	s_cbranch_scc0 .LBB11_312
; %bb.306:
	s_cmp_gt_i32 s9, 28
	s_cbranch_scc0 .LBB11_313
; %bb.307:
	;; [unrolled: 3-line block ×4, first 2 shown]
	s_mov_b64 s[4:5], 0
	s_mov_b64 s[0:1], -1
	s_cmp_eq_u32 s9, 46
	s_mov_b64 s[2:3], 0
	s_cbranch_scc0 .LBB11_320
; %bb.310:
	v_cvt_f32_f64_e32 v2, v[0:1]
	v_bfe_u32 v3, v2, 16, 1
	s_movk_i32 s0, 0x7fff
	v_add3_u32 v3, v2, v3, s0
	v_cmp_o_f32_e32 vcc, v2, v2
	v_mov_b32_e32 v2, 0x7fc0
	s_mov_b64 s[2:3], -1
	v_cndmask_b32_sdwa v2, v2, v3, vcc dst_sel:DWORD dst_unused:UNUSED_PAD src0_sel:DWORD src1_sel:WORD_1
	global_store_dword v[4:5], v2, off
	s_mov_b64 s[0:1], 0
	s_branch .LBB11_320
.LBB11_311:
	s_mov_b64 s[4:5], -1
	s_mov_b64 s[2:3], 0
	s_mov_b64 s[0:1], s[66:67]
	s_branch .LBB11_389
.LBB11_312:
	s_mov_b64 s[4:5], -1
	s_mov_b64 s[2:3], 0
	s_mov_b64 s[0:1], s[66:67]
	s_branch .LBB11_347
.LBB11_313:
	s_mov_b64 s[4:5], -1
	s_mov_b64 s[2:3], 0
	s_mov_b64 s[0:1], s[66:67]
	s_branch .LBB11_330
.LBB11_314:
	s_andn2_saveexec_b64 s[6:7], s[6:7]
	s_cbranch_execz .LBB11_198
.LBB11_315:
	s_mov_b32 s10, 0x46000000
	v_add_f32_e64 v3, |v2|, s10
	v_and_b32_e32 v3, 0xff, v3
	v_cmp_ne_u32_e32 vcc, 0, v3
	s_andn2_b64 s[4:5], s[4:5], exec
	s_and_b64 s[10:11], vcc, exec
	s_or_b64 s[4:5], s[4:5], s[10:11]
	s_or_b64 exec, exec, s[6:7]
	v_mov_b32_e32 v6, 0
	s_and_saveexec_b64 s[6:7], s[4:5]
	s_cbranch_execnz .LBB11_199
	s_branch .LBB11_200
.LBB11_316:
	s_mov_b64 s[4:5], -1
	s_mov_b64 s[2:3], 0
	s_mov_b64 s[0:1], s[66:67]
	s_branch .LBB11_326
.LBB11_317:
	s_andn2_saveexec_b64 s[6:7], s[6:7]
	s_cbranch_execz .LBB11_211
.LBB11_318:
	s_mov_b32 s10, 0x42800000
	v_add_f32_e64 v3, |v2|, s10
	v_and_b32_e32 v3, 0xff, v3
	v_cmp_ne_u32_e32 vcc, 0, v3
	s_andn2_b64 s[4:5], s[4:5], exec
	s_and_b64 s[10:11], vcc, exec
	s_or_b64 s[4:5], s[4:5], s[10:11]
	s_or_b64 exec, exec, s[6:7]
	v_mov_b32_e32 v6, 0
	s_and_saveexec_b64 s[6:7], s[4:5]
	s_cbranch_execnz .LBB11_212
	s_branch .LBB11_213
.LBB11_319:
	s_mov_b64 s[4:5], -1
	s_mov_b64 s[2:3], 0
	s_mov_b64 s[0:1], s[66:67]
.LBB11_320:
	s_and_b64 vcc, exec, s[4:5]
	s_cbranch_vccz .LBB11_325
; %bb.321:
	s_cmp_eq_u32 s9, 44
	s_mov_b64 s[0:1], -1
	s_cbranch_scc0 .LBB11_325
; %bb.322:
	v_cvt_f32_f64_e32 v2, v[0:1]
	v_bfe_u32 v3, v2, 23, 8
	s_movk_i32 s0, 0xff
	v_cmp_ne_u32_e32 vcc, s0, v3
	v_mov_b32_e32 v6, 0xff
	s_and_saveexec_b64 s[2:3], vcc
; %bb.323:
	s_mov_b32 s0, 0x3fffff
	v_lshrrev_b32_e32 v6, 23, v2
	v_and_b32_e32 v7, 0x400000, v2
	v_and_or_b32 v2, v2, s0, v3
	v_cmp_ne_u32_e32 vcc, 0, v7
	v_cmp_ne_u32_e64 s[0:1], 0, v2
	s_and_b64 s[0:1], vcc, s[0:1]
	s_nop 0
	v_cndmask_b32_e64 v2, 0, 1, s[0:1]
	v_add_u32_e32 v6, v6, v2
; %bb.324:
	s_or_b64 exec, exec, s[2:3]
	s_mov_b64 s[2:3], -1
	s_mov_b64 s[0:1], 0
	global_store_byte v[4:5], v6, off
.LBB11_325:
	s_mov_b64 s[4:5], 0
.LBB11_326:
	s_and_b64 vcc, exec, s[4:5]
	s_cbranch_vccz .LBB11_329
; %bb.327:
	s_cmp_eq_u32 s9, 29
	s_mov_b64 s[0:1], -1
	s_cbranch_scc0 .LBB11_329
; %bb.328:
	v_trunc_f64_e32 v[2:3], v[0:1]
	s_movk_i32 s0, 0xffe0
	v_ldexp_f64 v[6:7], v[2:3], s0
	v_floor_f64_e32 v[6:7], v[6:7]
	v_fmac_f64_e32 v[2:3], 0xc1f00000, v[6:7]
	v_cvt_u32_f64_e32 v9, v[6:7]
	v_cvt_u32_f64_e32 v8, v[2:3]
	global_store_dwordx2 v[4:5], v[8:9], off
	s_mov_b64 s[2:3], -1
	s_mov_b64 s[0:1], 0
.LBB11_329:
	s_mov_b64 s[4:5], 0
.LBB11_330:
	s_and_b64 vcc, exec, s[4:5]
	s_cbranch_vccz .LBB11_346
; %bb.331:
	s_cmp_lt_i32 s9, 27
	s_mov_b64 s[2:3], -1
	s_cbranch_scc1 .LBB11_337
; %bb.332:
	s_cmp_gt_i32 s9, 27
	v_cvt_u32_f64_e32 v2, v[0:1]
	s_cbranch_scc0 .LBB11_334
; %bb.333:
	s_mov_b64 s[2:3], 0
	global_store_dword v[4:5], v2, off
.LBB11_334:
	s_andn2_b64 vcc, exec, s[2:3]
	s_cbranch_vccnz .LBB11_336
; %bb.335:
	global_store_short v[4:5], v2, off
.LBB11_336:
	s_mov_b64 s[2:3], 0
.LBB11_337:
	s_andn2_b64 vcc, exec, s[2:3]
	s_cbranch_vccnz .LBB11_345
; %bb.338:
	v_cvt_f32_f64_e32 v2, v[0:1]
	v_and_b32_e32 v3, 0x7fffffff, v2
	s_mov_b32 s2, 0x43800000
	v_cmp_gt_u32_e32 vcc, s2, v3
	v_mov_b32_e32 v6, 0x80
	s_and_saveexec_b64 s[2:3], vcc
	s_cbranch_execz .LBB11_344
; %bb.339:
	s_mov_b32 s4, 0x3bffffff
	v_cmp_lt_u32_e32 vcc, s4, v3
	s_mov_b64 s[4:5], 0
                                        ; implicit-def: $vgpr3
	s_and_saveexec_b64 s[6:7], vcc
	s_xor_b64 s[6:7], exec, s[6:7]
	s_cbranch_execz .LBB11_1116
; %bb.340:
	v_bfe_u32 v3, v2, 20, 1
	s_mov_b32 s10, 0x487ffff
	v_add3_u32 v3, v2, v3, s10
	s_mov_b64 s[4:5], exec
	v_lshrrev_b32_e32 v3, 20, v3
	s_andn2_saveexec_b64 s[6:7], s[6:7]
	s_cbranch_execnz .LBB11_1117
.LBB11_341:
	s_or_b64 exec, exec, s[6:7]
	v_mov_b32_e32 v6, 0
	s_and_saveexec_b64 s[6:7], s[4:5]
.LBB11_342:
	v_lshrrev_b32_e32 v2, 24, v2
	s_movk_i32 s4, 0x80
	v_and_or_b32 v6, v2, s4, v3
.LBB11_343:
	s_or_b64 exec, exec, s[6:7]
.LBB11_344:
	s_or_b64 exec, exec, s[2:3]
	global_store_byte v[4:5], v6, off
.LBB11_345:
	s_mov_b64 s[2:3], -1
.LBB11_346:
	s_mov_b64 s[4:5], 0
.LBB11_347:
	s_and_b64 vcc, exec, s[4:5]
	s_cbranch_vccz .LBB11_388
; %bb.348:
	s_cmp_gt_i32 s9, 22
	s_mov_b64 s[4:5], -1
	s_cbranch_scc0 .LBB11_380
; %bb.349:
	s_cmp_lt_i32 s9, 24
	s_mov_b64 s[2:3], -1
	s_cbranch_scc1 .LBB11_369
; %bb.350:
	s_cmp_gt_i32 s9, 24
	s_cbranch_scc0 .LBB11_358
; %bb.351:
	v_cvt_f32_f64_e32 v2, v[0:1]
	v_and_b32_e32 v3, 0x7fffffff, v2
	s_mov_b32 s2, 0x47800000
	v_cmp_gt_u32_e32 vcc, s2, v3
	v_mov_b32_e32 v6, 0x80
	s_and_saveexec_b64 s[2:3], vcc
	s_cbranch_execz .LBB11_357
; %bb.352:
	s_mov_b32 s4, 0x37ffffff
	v_cmp_lt_u32_e32 vcc, s4, v3
	s_mov_b64 s[4:5], 0
                                        ; implicit-def: $vgpr3
	s_and_saveexec_b64 s[6:7], vcc
	s_xor_b64 s[6:7], exec, s[6:7]
	s_cbranch_execz .LBB11_1123
; %bb.353:
	v_bfe_u32 v3, v2, 21, 1
	s_mov_b32 s10, 0x88fffff
	v_add3_u32 v3, v2, v3, s10
	s_mov_b64 s[4:5], exec
	v_lshrrev_b32_e32 v3, 21, v3
	s_andn2_saveexec_b64 s[6:7], s[6:7]
	s_cbranch_execnz .LBB11_1124
.LBB11_354:
	s_or_b64 exec, exec, s[6:7]
	v_mov_b32_e32 v6, 0
	s_and_saveexec_b64 s[6:7], s[4:5]
.LBB11_355:
	v_lshrrev_b32_e32 v2, 24, v2
	s_movk_i32 s4, 0x80
	v_and_or_b32 v6, v2, s4, v3
.LBB11_356:
	s_or_b64 exec, exec, s[6:7]
.LBB11_357:
	s_or_b64 exec, exec, s[2:3]
	s_mov_b64 s[2:3], 0
	global_store_byte v[4:5], v6, off
.LBB11_358:
	s_and_b64 vcc, exec, s[2:3]
	s_cbranch_vccz .LBB11_368
; %bb.359:
	v_cvt_f32_f64_e32 v2, v[0:1]
	v_and_b32_e32 v6, 0x7fffffff, v2
	s_mov_b32 s2, 0x43f00000
	v_cmp_gt_u32_e32 vcc, s2, v6
                                        ; implicit-def: $vgpr3
	s_and_saveexec_b64 s[2:3], vcc
	s_xor_b64 s[2:3], exec, s[2:3]
	s_cbranch_execz .LBB11_365
; %bb.360:
	s_mov_b32 s4, 0x3c7fffff
	v_cmp_lt_u32_e32 vcc, s4, v6
                                        ; implicit-def: $vgpr3
	s_and_saveexec_b64 s[4:5], vcc
	s_xor_b64 s[4:5], exec, s[4:5]
; %bb.361:
	v_bfe_u32 v3, v2, 20, 1
	s_mov_b32 s6, 0x407ffff
	v_add3_u32 v3, v2, v3, s6
	v_lshrrev_b32_e32 v6, 20, v3
	v_and_b32_e32 v3, 0xff00000, v3
	s_mov_b32 s6, 0x7f00000
	v_mov_b32_e32 v7, 0x7e
	v_cmp_ne_u32_e32 vcc, s6, v3
	s_nop 1
	v_cndmask_b32_e32 v3, v7, v6, vcc
; %bb.362:
	s_andn2_saveexec_b64 s[4:5], s[4:5]
; %bb.363:
	s_mov_b32 s6, 0x46800000
	v_add_f32_e64 v3, |v2|, s6
; %bb.364:
	s_or_b64 exec, exec, s[4:5]
                                        ; implicit-def: $vgpr6
.LBB11_365:
	s_andn2_saveexec_b64 s[2:3], s[2:3]
; %bb.366:
	s_mov_b32 s4, 0x7f800000
	v_mov_b32_e32 v3, 0x7e
	v_mov_b32_e32 v7, 0x7f
	v_cmp_lt_u32_e32 vcc, s4, v6
	s_nop 1
	v_cndmask_b32_e32 v3, v3, v7, vcc
; %bb.367:
	s_or_b64 exec, exec, s[2:3]
	v_lshrrev_b32_e32 v2, 24, v2
	s_movk_i32 s2, 0x80
	v_and_or_b32 v2, v2, s2, v3
	global_store_byte v[4:5], v2, off
.LBB11_368:
	s_mov_b64 s[2:3], 0
.LBB11_369:
	s_andn2_b64 vcc, exec, s[2:3]
	s_cbranch_vccnz .LBB11_379
; %bb.370:
	v_cvt_f32_f64_e32 v2, v[0:1]
	v_and_b32_e32 v6, 0x7fffffff, v2
	s_mov_b32 s2, 0x47800000
	v_cmp_gt_u32_e32 vcc, s2, v6
                                        ; implicit-def: $vgpr3
	s_and_saveexec_b64 s[2:3], vcc
	s_xor_b64 s[2:3], exec, s[2:3]
	s_cbranch_execz .LBB11_376
; %bb.371:
	s_mov_b32 s4, 0x387fffff
	v_cmp_lt_u32_e32 vcc, s4, v6
                                        ; implicit-def: $vgpr3
	s_and_saveexec_b64 s[4:5], vcc
	s_xor_b64 s[4:5], exec, s[4:5]
; %bb.372:
	v_bfe_u32 v3, v2, 21, 1
	s_mov_b32 s6, 0x80fffff
	v_add3_u32 v3, v2, v3, s6
	v_lshrrev_b32_e32 v3, 21, v3
; %bb.373:
	s_andn2_saveexec_b64 s[4:5], s[4:5]
; %bb.374:
	s_mov_b32 s6, 0x43000000
	v_add_f32_e64 v3, |v2|, s6
; %bb.375:
	s_or_b64 exec, exec, s[4:5]
                                        ; implicit-def: $vgpr6
.LBB11_376:
	s_andn2_saveexec_b64 s[2:3], s[2:3]
; %bb.377:
	s_mov_b32 s4, 0x7f800000
	v_mov_b32_e32 v3, 0x7c
	v_mov_b32_e32 v7, 0x7f
	v_cmp_lt_u32_e32 vcc, s4, v6
	s_nop 1
	v_cndmask_b32_e32 v3, v3, v7, vcc
; %bb.378:
	s_or_b64 exec, exec, s[2:3]
	v_lshrrev_b32_e32 v2, 24, v2
	s_movk_i32 s2, 0x80
	v_and_or_b32 v2, v2, s2, v3
	global_store_byte v[4:5], v2, off
.LBB11_379:
	s_mov_b64 s[4:5], 0
	s_mov_b64 s[2:3], -1
.LBB11_380:
	s_andn2_b64 vcc, exec, s[4:5]
	s_cbranch_vccnz .LBB11_388
; %bb.381:
	s_cmp_gt_i32 s9, 14
	s_mov_b64 s[4:5], -1
	s_cbranch_scc0 .LBB11_385
; %bb.382:
	s_cmp_eq_u32 s9, 15
	s_mov_b64 s[0:1], -1
	s_cbranch_scc0 .LBB11_384
; %bb.383:
	v_cvt_f32_f64_e32 v2, v[0:1]
	v_bfe_u32 v3, v2, 16, 1
	s_movk_i32 s0, 0x7fff
	v_add3_u32 v3, v2, v3, s0
	v_cmp_o_f32_e32 vcc, v2, v2
	v_mov_b32_e32 v2, 0x7fc0
	s_mov_b64 s[2:3], -1
	v_cndmask_b32_sdwa v2, v2, v3, vcc dst_sel:DWORD dst_unused:UNUSED_PAD src0_sel:DWORD src1_sel:WORD_1
	global_store_short v[4:5], v2, off
	s_mov_b64 s[0:1], 0
.LBB11_384:
	s_mov_b64 s[4:5], 0
.LBB11_385:
	s_and_b64 vcc, exec, s[4:5]
	s_cbranch_vccz .LBB11_388
; %bb.386:
	s_cmp_eq_u32 s9, 11
	s_mov_b64 s[0:1], -1
	s_cbranch_scc0 .LBB11_388
; %bb.387:
	v_cmp_neq_f64_e32 vcc, 0, v[0:1]
	s_mov_b64 s[0:1], 0
	s_mov_b64 s[2:3], -1
	v_cndmask_b32_e64 v2, 0, 1, vcc
	global_store_byte v[4:5], v2, off
.LBB11_388:
	s_mov_b64 s[4:5], 0
.LBB11_389:
	s_and_b64 vcc, exec, s[4:5]
	s_cbranch_vccz .LBB11_428
; %bb.390:
	s_and_b32 s4, 0xffff, s8
	s_cmp_lt_i32 s4, 5
	s_mov_b64 s[2:3], -1
	s_cbranch_scc1 .LBB11_411
; %bb.391:
	s_cmp_lt_i32 s4, 8
	s_cbranch_scc1 .LBB11_401
; %bb.392:
	s_cmp_lt_i32 s4, 9
	s_cbranch_scc1 .LBB11_398
; %bb.393:
	s_cmp_gt_i32 s4, 9
	s_cbranch_scc0 .LBB11_395
; %bb.394:
	v_mov_b32_e32 v2, 0
	v_mov_b32_e32 v3, v2
	s_mov_b64 s[2:3], 0
	global_store_dwordx4 v[4:5], v[0:3], off
.LBB11_395:
	s_andn2_b64 vcc, exec, s[2:3]
	s_cbranch_vccnz .LBB11_397
; %bb.396:
	v_cvt_f32_f64_e32 v2, v[0:1]
	v_mov_b32_e32 v3, 0
	global_store_dwordx2 v[4:5], v[2:3], off
.LBB11_397:
	s_mov_b64 s[2:3], 0
.LBB11_398:
	s_andn2_b64 vcc, exec, s[2:3]
	s_cbranch_vccnz .LBB11_400
; %bb.399:
	s_movk_i32 s2, 0x1ff
	v_and_or_b32 v2, v1, s2, v0
	v_cmp_ne_u32_e32 vcc, 0, v2
	v_lshrrev_b32_e32 v3, 8, v1
	s_movk_i32 s2, 0xffe
	v_cndmask_b32_e64 v2, 0, 1, vcc
	v_bfe_u32 v6, v1, 20, 11
	v_and_or_b32 v2, v3, s2, v2
	v_sub_u32_e32 v7, 0x3f1, v6
	v_or_b32_e32 v3, 0x1000, v2
	v_med3_i32 v7, v7, 0, 13
	v_lshrrev_b32_e32 v8, v7, v3
	v_lshlrev_b32_e32 v7, v7, v8
	v_cmp_ne_u32_e32 vcc, v7, v3
	v_add_u32_e32 v6, 0xfffffc10, v6
	v_lshl_or_b32 v7, v6, 12, v2
	v_cndmask_b32_e64 v3, 0, 1, vcc
	v_or_b32_e32 v3, v8, v3
	v_cmp_gt_i32_e32 vcc, 1, v6
	s_movk_i32 s2, 0x40f
	s_nop 0
	v_cndmask_b32_e32 v3, v7, v3, vcc
	v_and_b32_e32 v7, 7, v3
	v_cmp_lt_i32_e32 vcc, 5, v7
	v_lshrrev_b32_e32 v3, 2, v3
	s_nop 0
	v_cndmask_b32_e64 v8, 0, 1, vcc
	v_cmp_eq_u32_e32 vcc, 3, v7
	s_nop 1
	v_cndmask_b32_e64 v7, 0, 1, vcc
	v_or_b32_e32 v7, v7, v8
	v_add_u32_e32 v3, v3, v7
	v_mov_b32_e32 v7, 0x7c00
	v_cmp_gt_i32_e32 vcc, 31, v6
	v_mov_b32_e32 v8, 0x7e00
	s_nop 0
	v_cndmask_b32_e32 v3, v7, v3, vcc
	v_cmp_ne_u32_e32 vcc, 0, v2
	s_nop 1
	v_cndmask_b32_e32 v2, v7, v8, vcc
	v_cmp_eq_u32_e32 vcc, s2, v6
	s_mov_b32 s2, 0x8000
	s_nop 0
	v_cndmask_b32_e32 v2, v3, v2, vcc
	v_and_b32_sdwa v3, v1, s2 dst_sel:DWORD dst_unused:UNUSED_PAD src0_sel:WORD_1 src1_sel:DWORD
	s_mov_b32 s2, 0xffff
	v_bitop3_b32 v2, v3, s2, v2 bitop3:0xc8
	global_store_dword v[4:5], v2, off
.LBB11_400:
	s_mov_b64 s[2:3], 0
.LBB11_401:
	s_andn2_b64 vcc, exec, s[2:3]
	s_cbranch_vccnz .LBB11_410
; %bb.402:
	s_cmp_lt_i32 s4, 6
	s_mov_b64 s[2:3], -1
	s_cbranch_scc1 .LBB11_408
; %bb.403:
	s_cmp_gt_i32 s4, 6
	s_cbranch_scc0 .LBB11_405
; %bb.404:
	s_mov_b64 s[2:3], 0
	global_store_dwordx2 v[4:5], v[0:1], off
.LBB11_405:
	s_andn2_b64 vcc, exec, s[2:3]
	s_cbranch_vccnz .LBB11_407
; %bb.406:
	v_cvt_f32_f64_e32 v2, v[0:1]
	global_store_dword v[4:5], v2, off
.LBB11_407:
	s_mov_b64 s[2:3], 0
.LBB11_408:
	s_andn2_b64 vcc, exec, s[2:3]
	s_cbranch_vccnz .LBB11_410
; %bb.409:
	s_movk_i32 s2, 0x1ff
	v_and_or_b32 v2, v1, s2, v0
	v_cmp_ne_u32_e32 vcc, 0, v2
	v_lshrrev_b32_e32 v3, 8, v1
	s_movk_i32 s2, 0xffe
	v_cndmask_b32_e64 v2, 0, 1, vcc
	v_bfe_u32 v6, v1, 20, 11
	v_and_or_b32 v2, v3, s2, v2
	v_sub_u32_e32 v7, 0x3f1, v6
	v_or_b32_e32 v3, 0x1000, v2
	v_med3_i32 v7, v7, 0, 13
	v_lshrrev_b32_e32 v8, v7, v3
	v_lshlrev_b32_e32 v7, v7, v8
	v_cmp_ne_u32_e32 vcc, v7, v3
	v_add_u32_e32 v6, 0xfffffc10, v6
	v_lshl_or_b32 v7, v6, 12, v2
	v_cndmask_b32_e64 v3, 0, 1, vcc
	v_or_b32_e32 v3, v8, v3
	v_cmp_gt_i32_e32 vcc, 1, v6
	s_movk_i32 s2, 0x40f
	s_nop 0
	v_cndmask_b32_e32 v3, v7, v3, vcc
	v_and_b32_e32 v7, 7, v3
	v_cmp_lt_i32_e32 vcc, 5, v7
	v_lshrrev_b32_e32 v3, 2, v3
	s_nop 0
	v_cndmask_b32_e64 v8, 0, 1, vcc
	v_cmp_eq_u32_e32 vcc, 3, v7
	s_nop 1
	v_cndmask_b32_e64 v7, 0, 1, vcc
	v_or_b32_e32 v7, v7, v8
	v_add_u32_e32 v3, v3, v7
	v_mov_b32_e32 v7, 0x7c00
	v_cmp_gt_i32_e32 vcc, 31, v6
	v_mov_b32_e32 v8, 0x7e00
	s_nop 0
	v_cndmask_b32_e32 v3, v7, v3, vcc
	v_cmp_ne_u32_e32 vcc, 0, v2
	s_nop 1
	v_cndmask_b32_e32 v2, v7, v8, vcc
	v_cmp_eq_u32_e32 vcc, s2, v6
	s_mov_b32 s2, 0x8000
	s_nop 0
	v_cndmask_b32_e32 v2, v3, v2, vcc
	v_lshrrev_b32_e32 v3, 16, v1
	v_and_or_b32 v2, v3, s2, v2
	global_store_short v[4:5], v2, off
.LBB11_410:
	s_mov_b64 s[2:3], 0
.LBB11_411:
	s_andn2_b64 vcc, exec, s[2:3]
	s_cbranch_vccnz .LBB11_427
; %bb.412:
	s_cmp_lt_i32 s4, 2
	s_mov_b64 s[2:3], -1
	s_cbranch_scc1 .LBB11_422
; %bb.413:
	s_cmp_lt_i32 s4, 3
	s_cbranch_scc1 .LBB11_419
; %bb.414:
	s_cmp_gt_i32 s4, 3
	s_cbranch_scc0 .LBB11_416
; %bb.415:
	v_trunc_f64_e32 v[2:3], v[0:1]
	s_movk_i32 s2, 0xffe0
	v_ldexp_f64 v[6:7], v[2:3], s2
	v_floor_f64_e32 v[6:7], v[6:7]
	v_fmac_f64_e32 v[2:3], 0xc1f00000, v[6:7]
	v_cvt_i32_f64_e32 v9, v[6:7]
	v_cvt_u32_f64_e32 v8, v[2:3]
	s_mov_b64 s[2:3], 0
	global_store_dwordx2 v[4:5], v[8:9], off
.LBB11_416:
	s_andn2_b64 vcc, exec, s[2:3]
	s_cbranch_vccnz .LBB11_418
; %bb.417:
	v_cvt_i32_f64_e32 v2, v[0:1]
	global_store_dword v[4:5], v2, off
.LBB11_418:
	s_mov_b64 s[2:3], 0
.LBB11_419:
	s_andn2_b64 vcc, exec, s[2:3]
	s_cbranch_vccnz .LBB11_421
; %bb.420:
	v_cvt_i32_f64_e32 v2, v[0:1]
	global_store_short v[4:5], v2, off
.LBB11_421:
	s_mov_b64 s[2:3], 0
.LBB11_422:
	s_andn2_b64 vcc, exec, s[2:3]
	s_cbranch_vccnz .LBB11_427
; %bb.423:
	s_cmp_gt_i32 s4, 0
	s_mov_b64 s[2:3], -1
	s_cbranch_scc0 .LBB11_425
; %bb.424:
	v_cvt_i32_f64_e32 v2, v[0:1]
	s_mov_b64 s[2:3], 0
	global_store_byte v[4:5], v2, off
.LBB11_425:
	s_andn2_b64 vcc, exec, s[2:3]
	s_cbranch_vccnz .LBB11_427
; %bb.426:
	v_trunc_f64_e32 v[0:1], v[0:1]
	s_movk_i32 s2, 0xffe0
	v_ldexp_f64 v[2:3], v[0:1], s2
	v_floor_f64_e32 v[2:3], v[2:3]
	v_fmac_f64_e32 v[0:1], 0xc1f00000, v[2:3]
	v_cvt_u32_f64_e32 v0, v[0:1]
	global_store_byte v[4:5], v0, off
.LBB11_427:
	s_mov_b64 s[2:3], -1
.LBB11_428:
	s_andn2_b64 vcc, exec, s[2:3]
	s_cbranch_vccnz .LBB11_430
; %bb.429:
	v_add_u32_e32 v40, 0x80, v40
	s_mov_b64 s[2:3], -1
	s_branch .LBB11_431
.LBB11_430:
	s_mov_b64 s[2:3], 0
                                        ; implicit-def: $vgpr40
.LBB11_431:
	s_andn2_b64 s[4:5], s[66:67], exec
	s_and_b64 s[0:1], s[0:1], exec
	s_or_b64 s[72:73], s[4:5], s[0:1]
	s_orn2_b64 s[2:3], s[2:3], exec
.LBB11_432:
	s_or_b64 exec, exec, s[70:71]
	s_mov_b64 s[0:1], 0
	s_mov_b64 s[6:7], 0
                                        ; implicit-def: $sgpr10
                                        ; implicit-def: $vgpr4_vgpr5
                                        ; implicit-def: $vgpr0_vgpr1
	s_and_saveexec_b64 s[70:71], s[2:3]
	s_cbranch_execz .LBB11_528
; %bb.433:
	v_cmp_gt_i32_e32 vcc, s74, v40
	s_mov_b64 s[2:3], 0
	s_mov_b64 s[4:5], s[72:73]
                                        ; implicit-def: $sgpr10
                                        ; implicit-def: $vgpr4_vgpr5
                                        ; implicit-def: $vgpr0_vgpr1
	s_and_saveexec_b64 s[74:75], vcc
	s_cbranch_execz .LBB11_527
; %bb.434:
	s_andn2_b64 vcc, exec, s[50:51]
	s_cbranch_vccnz .LBB11_440
; %bb.435:
	s_andn2_b64 vcc, exec, s[60:61]
	s_cbranch_vccnz .LBB11_441
; %bb.436:
	s_add_i32 s78, s78, 1
	s_cmp_eq_u32 s76, 2
	s_cbranch_scc1 .LBB11_442
; %bb.437:
	s_and_b32 s22, s78, 28
	s_mov_b32 s23, 0
	v_mov_b32_e32 v38, 0
	v_mov_b32_e32 v2, 0
	s_mov_b64 s[20:21], s[34:35]
	v_mov_b32_e32 v0, v40
.LBB11_438:                             ; =>This Inner Loop Header: Depth=1
	s_load_dwordx8 s[8:15], s[20:21], 0x4
	s_load_dwordx4 s[16:19], s[20:21], 0x24
	s_load_dwordx8 s[0:7], s[58:59], 0x0
	s_add_u32 s20, s20, 48
	s_addc_u32 s21, s21, 0
	s_waitcnt lgkmcnt(0)
	v_mul_hi_u32 v1, s9, v0
	v_add_u32_e32 v1, v0, v1
	v_lshrrev_b32_e32 v1, s10, v1
	v_mul_lo_u32 v3, v1, s8
	v_mul_hi_u32 v4, s12, v1
	v_sub_u32_e32 v0, v0, v3
	v_add_u32_e32 v3, v1, v4
	v_lshrrev_b32_e32 v3, s13, v3
	v_mul_lo_u32 v5, v3, s11
	v_mul_hi_u32 v6, s15, v3
	v_sub_u32_e32 v1, v1, v5
	v_add_u32_e32 v5, v3, v6
	v_mul_lo_u32 v4, v0, s1
	v_mul_lo_u32 v0, v0, s0
	;; [unrolled: 1-line block ×4, first 2 shown]
	v_lshrrev_b32_e32 v5, s16, v5
	v_add3_u32 v1, v0, v38, v1
	v_add3_u32 v2, v4, v2, v6
	v_mul_lo_u32 v0, v5, s14
	v_mul_hi_u32 v4, s18, v5
	v_sub_u32_e32 v0, v3, v0
	v_add_u32_e32 v3, v5, v4
	v_mul_lo_u32 v4, v0, s4
	v_mul_lo_u32 v6, v0, s5
	v_lshrrev_b32_e32 v0, s19, v3
	s_add_i32 s23, s23, 4
	v_mul_lo_u32 v3, v0, s17
	s_add_u32 s58, s58, 32
	v_sub_u32_e32 v3, v5, v3
	s_addc_u32 s59, s59, 0
	v_mul_lo_u32 v5, v3, s6
	v_mul_lo_u32 v3, v3, s7
	s_cmp_eq_u32 s22, s23
	v_add3_u32 v2, v6, v2, v3
	v_add3_u32 v38, v4, v1, v5
	s_cbranch_scc0 .LBB11_438
; %bb.439:
	v_mov_b32_e32 v1, v2
	s_branch .LBB11_443
.LBB11_440:
	s_mov_b64 s[0:1], -1
                                        ; implicit-def: $vgpr2
                                        ; implicit-def: $vgpr38
	s_branch .LBB11_447
.LBB11_441:
	v_mov_b32_e32 v2, 0
	v_mov_b32_e32 v38, 0
	s_branch .LBB11_446
.LBB11_442:
	v_mov_b32_e32 v38, 0
	s_mov_b32 s22, 0
	v_mov_b32_e32 v1, v38
                                        ; implicit-def: $vgpr2
	v_mov_b32_e32 v0, v40
.LBB11_443:
	s_and_b32 s4, s78, 3
	s_cmp_eq_u32 s4, 0
	s_cbranch_scc1 .LBB11_446
; %bb.444:
	s_lshl_b32 s0, s22, 3
	s_add_u32 s0, s34, s0
	s_addc_u32 s1, s35, 0
	s_add_u32 s0, s0, 0xc4
	s_addc_u32 s1, s1, 0
	s_mul_i32 s2, s22, 12
	s_add_u32 s2, s34, s2
	s_addc_u32 s3, s35, 0
.LBB11_445:                             ; =>This Inner Loop Header: Depth=1
	s_load_dwordx2 s[6:7], s[2:3], 0x4
	s_load_dword s5, s[2:3], 0xc
	s_load_dwordx2 s[8:9], s[0:1], 0x0
	v_mov_b32_e32 v2, v1
	s_add_u32 s2, s2, 12
	s_waitcnt lgkmcnt(0)
	v_mul_hi_u32 v1, s7, v0
	v_add_u32_e32 v1, v0, v1
	v_lshrrev_b32_e32 v1, s5, v1
	s_addc_u32 s3, s3, 0
	v_mul_lo_u32 v3, v1, s6
	s_add_u32 s0, s0, 8
	v_sub_u32_e32 v4, v0, v3
	s_addc_u32 s1, s1, 0
	s_add_i32 s4, s4, -1
	v_mad_u64_u32 v[2:3], s[6:7], v4, s9, v[2:3]
	s_cmp_lg_u32 s4, 0
	v_mov_b32_e32 v0, v1
	v_mad_u64_u32 v[38:39], s[6:7], v4, s8, v[38:39]
	v_mov_b32_e32 v1, v2
	s_cbranch_scc1 .LBB11_445
.LBB11_446:
	s_mov_b64 s[0:1], 0
.LBB11_447:
	s_andn2_b64 vcc, exec, s[0:1]
	s_cbranch_vccnz .LBB11_450
; %bb.448:
	s_waitcnt lgkmcnt(0)
	v_mul_hi_u32 v0, s45, v40
	v_add_u32_e32 v0, v40, v0
	v_lshrrev_b32_e32 v0, s46, v0
	v_mul_lo_u32 v1, v0, s44
	v_sub_u32_e32 v1, v40, v1
	v_mul_lo_u32 v2, v1, s41
	s_andn2_b64 vcc, exec, s[56:57]
	v_mul_lo_u32 v38, v1, s40
	s_cbranch_vccnz .LBB11_450
; %bb.449:
	v_mul_hi_u32 v1, s54, v0
	v_add_u32_e32 v1, v0, v1
	v_lshrrev_b32_e32 v1, s55, v1
	v_mul_lo_u32 v1, v1, s47
	v_sub_u32_e32 v0, v0, v1
	v_mad_u64_u32 v[38:39], s[0:1], v0, s42, v[38:39]
	v_mad_u64_u32 v[2:3], s[0:1], v0, s43, v[2:3]
.LBB11_450:
	s_getpc_b64 s[0:1]
	s_add_u32 s0, s0, _ZN2at6native6invokeIZZZNS0_12_GLOBAL__N_121bessel_y1_kernel_cudaERNS_18TensorIteratorBaseEENKUlvE_clEvENKUlvE_clEvEUldE_j15function_traitsIS7_EEENT1_11result_typeERKT_PrKPcPKT0_PKN3c1010ScalarTypeEi@rel32@lo+4
	s_addc_u32 s1, s1, _ZN2at6native6invokeIZZZNS0_12_GLOBAL__N_121bessel_y1_kernel_cudaERNS_18TensorIteratorBaseEENKUlvE_clEvENKUlvE_clEvEUldE_j15function_traitsIS7_EEENT1_11result_typeERKT_PrKPcPKT0_PKN3c1010ScalarTypeEi@rel32@hi+12
	s_waitcnt lgkmcnt(0)
	v_mov_b32_e32 v0, s38
	v_mov_b32_e32 v1, s39
	v_mov_b32_e32 v3, v36
	s_swappc_b64 s[30:31], s[0:1]
	v_mov_b32_e32 v39, 0
	s_and_b32 s10, s77, 0xff
	s_cmp_lt_i32 s10, 11
	v_lshl_add_u64 v[4:5], s[36:37], 0, v[38:39]
	s_cbranch_scc1 .LBB11_524
; %bb.451:
	s_and_b32 s11, 0xffff, s10
	s_mov_b64 s[4:5], -1
	s_cmp_gt_i32 s11, 25
	s_mov_b64 s[0:1], s[72:73]
	s_cbranch_scc0 .LBB11_484
; %bb.452:
	s_mov_b64 s[2:3], -1
	s_cmp_gt_i32 s11, 28
	s_mov_b64 s[0:1], s[72:73]
	s_cbranch_scc0 .LBB11_468
; %bb.453:
	s_cmp_gt_i32 s11, 43
	s_mov_b64 s[0:1], s[72:73]
	s_cbranch_scc0 .LBB11_464
; %bb.454:
	;; [unrolled: 4-line block ×3, first 2 shown]
	s_cmp_eq_u32 s11, 46
	s_mov_b64 s[0:1], -1
	s_cbranch_scc0 .LBB11_457
; %bb.456:
	v_cvt_f32_f64_e32 v2, v[0:1]
	v_bfe_u32 v3, v2, 16, 1
	s_movk_i32 s0, 0x7fff
	v_add3_u32 v3, v2, v3, s0
	v_cmp_o_f32_e32 vcc, v2, v2
	v_mov_b32_e32 v2, 0x7fc0
	s_mov_b64 s[0:1], 0
	v_cndmask_b32_sdwa v2, v2, v3, vcc dst_sel:DWORD dst_unused:UNUSED_PAD src0_sel:DWORD src1_sel:WORD_1
	global_store_dword v[4:5], v2, off
.LBB11_457:
	s_mov_b64 s[2:3], 0
.LBB11_458:
	s_and_b64 vcc, exec, s[2:3]
	s_cbranch_vccz .LBB11_463
; %bb.459:
	s_cmp_eq_u32 s11, 44
	s_mov_b64 s[0:1], -1
	s_cbranch_scc0 .LBB11_463
; %bb.460:
	v_cvt_f32_f64_e32 v2, v[0:1]
	v_bfe_u32 v3, v2, 23, 8
	s_movk_i32 s0, 0xff
	v_cmp_ne_u32_e32 vcc, s0, v3
	v_mov_b32_e32 v6, 0xff
	s_and_saveexec_b64 s[2:3], vcc
; %bb.461:
	s_mov_b32 s0, 0x3fffff
	v_lshrrev_b32_e32 v6, 23, v2
	v_and_b32_e32 v7, 0x400000, v2
	v_and_or_b32 v2, v2, s0, v3
	v_cmp_ne_u32_e32 vcc, 0, v7
	v_cmp_ne_u32_e64 s[0:1], 0, v2
	s_and_b64 s[0:1], vcc, s[0:1]
	s_nop 0
	v_cndmask_b32_e64 v2, 0, 1, s[0:1]
	v_add_u32_e32 v6, v6, v2
; %bb.462:
	s_or_b64 exec, exec, s[2:3]
	s_mov_b64 s[0:1], 0
	global_store_byte v[4:5], v6, off
.LBB11_463:
	s_mov_b64 s[2:3], 0
.LBB11_464:
	s_and_b64 vcc, exec, s[2:3]
	s_cbranch_vccz .LBB11_467
; %bb.465:
	s_cmp_eq_u32 s11, 29
	s_mov_b64 s[0:1], -1
	s_cbranch_scc0 .LBB11_467
; %bb.466:
	v_trunc_f64_e32 v[2:3], v[0:1]
	s_movk_i32 s0, 0xffe0
	v_ldexp_f64 v[6:7], v[2:3], s0
	v_floor_f64_e32 v[6:7], v[6:7]
	v_fmac_f64_e32 v[2:3], 0xc1f00000, v[6:7]
	v_cvt_u32_f64_e32 v9, v[6:7]
	v_cvt_u32_f64_e32 v8, v[2:3]
	global_store_dwordx2 v[4:5], v[8:9], off
	s_mov_b64 s[0:1], 0
.LBB11_467:
	s_mov_b64 s[2:3], 0
.LBB11_468:
	s_and_b64 vcc, exec, s[2:3]
	s_cbranch_vccz .LBB11_483
; %bb.469:
	s_cmp_lt_i32 s11, 27
	s_mov_b64 s[2:3], -1
	s_cbranch_scc1 .LBB11_475
; %bb.470:
	s_cmp_gt_i32 s11, 27
	v_cvt_u32_f64_e32 v2, v[0:1]
	s_cbranch_scc0 .LBB11_472
; %bb.471:
	s_mov_b64 s[2:3], 0
	global_store_dword v[4:5], v2, off
.LBB11_472:
	s_andn2_b64 vcc, exec, s[2:3]
	s_cbranch_vccnz .LBB11_474
; %bb.473:
	global_store_short v[4:5], v2, off
.LBB11_474:
	s_mov_b64 s[2:3], 0
.LBB11_475:
	s_andn2_b64 vcc, exec, s[2:3]
	s_cbranch_vccnz .LBB11_483
; %bb.476:
	v_cvt_f32_f64_e32 v2, v[0:1]
	v_and_b32_e32 v3, 0x7fffffff, v2
	s_mov_b32 s2, 0x43800000
	v_cmp_gt_u32_e32 vcc, s2, v3
	v_mov_b32_e32 v6, 0x80
	s_and_saveexec_b64 s[2:3], vcc
	s_cbranch_execz .LBB11_482
; %bb.477:
	s_mov_b32 s4, 0x3bffffff
	v_cmp_lt_u32_e32 vcc, s4, v3
	s_mov_b64 s[4:5], 0
                                        ; implicit-def: $vgpr3
	s_and_saveexec_b64 s[6:7], vcc
	s_xor_b64 s[6:7], exec, s[6:7]
	s_cbranch_execz .LBB11_1125
; %bb.478:
	v_bfe_u32 v3, v2, 20, 1
	s_mov_b32 s8, 0x487ffff
	v_add3_u32 v3, v2, v3, s8
	s_mov_b64 s[4:5], exec
	v_lshrrev_b32_e32 v3, 20, v3
	s_andn2_saveexec_b64 s[6:7], s[6:7]
	s_cbranch_execnz .LBB11_1126
.LBB11_479:
	s_or_b64 exec, exec, s[6:7]
	v_mov_b32_e32 v6, 0
	s_and_saveexec_b64 s[6:7], s[4:5]
.LBB11_480:
	v_lshrrev_b32_e32 v2, 24, v2
	s_movk_i32 s4, 0x80
	v_and_or_b32 v6, v2, s4, v3
.LBB11_481:
	s_or_b64 exec, exec, s[6:7]
.LBB11_482:
	s_or_b64 exec, exec, s[2:3]
	global_store_byte v[4:5], v6, off
.LBB11_483:
	s_mov_b64 s[4:5], 0
.LBB11_484:
	s_mov_b64 s[2:3], 0
	s_and_b64 vcc, exec, s[4:5]
	s_cbranch_vccz .LBB11_525
; %bb.485:
	s_cmp_gt_i32 s11, 22
	s_mov_b64 s[4:5], -1
	s_cbranch_scc0 .LBB11_517
; %bb.486:
	s_cmp_lt_i32 s11, 24
	s_cbranch_scc1 .LBB11_506
; %bb.487:
	s_cmp_gt_i32 s11, 24
	s_cbranch_scc0 .LBB11_495
; %bb.488:
	v_cvt_f32_f64_e32 v2, v[0:1]
	v_and_b32_e32 v3, 0x7fffffff, v2
	s_mov_b32 s4, 0x47800000
	v_cmp_gt_u32_e32 vcc, s4, v3
	v_mov_b32_e32 v6, 0x80
	s_and_saveexec_b64 s[4:5], vcc
	s_cbranch_execz .LBB11_494
; %bb.489:
	s_mov_b32 s6, 0x37ffffff
	v_cmp_lt_u32_e32 vcc, s6, v3
	s_mov_b64 s[6:7], 0
                                        ; implicit-def: $vgpr3
	s_and_saveexec_b64 s[8:9], vcc
	s_xor_b64 s[8:9], exec, s[8:9]
	s_cbranch_execz .LBB11_1129
; %bb.490:
	v_bfe_u32 v3, v2, 21, 1
	s_mov_b32 s12, 0x88fffff
	v_add3_u32 v3, v2, v3, s12
	s_mov_b64 s[6:7], exec
	v_lshrrev_b32_e32 v3, 21, v3
	s_andn2_saveexec_b64 s[8:9], s[8:9]
	s_cbranch_execnz .LBB11_1130
.LBB11_491:
	s_or_b64 exec, exec, s[8:9]
	v_mov_b32_e32 v6, 0
	s_and_saveexec_b64 s[8:9], s[6:7]
.LBB11_492:
	v_lshrrev_b32_e32 v2, 24, v2
	s_movk_i32 s6, 0x80
	v_and_or_b32 v6, v2, s6, v3
.LBB11_493:
	s_or_b64 exec, exec, s[8:9]
.LBB11_494:
	s_or_b64 exec, exec, s[4:5]
	s_mov_b64 s[4:5], 0
	global_store_byte v[4:5], v6, off
.LBB11_495:
	s_and_b64 vcc, exec, s[4:5]
	s_cbranch_vccz .LBB11_505
; %bb.496:
	v_cvt_f32_f64_e32 v2, v[0:1]
	v_and_b32_e32 v6, 0x7fffffff, v2
	s_mov_b32 s4, 0x43f00000
	v_cmp_gt_u32_e32 vcc, s4, v6
                                        ; implicit-def: $vgpr3
	s_and_saveexec_b64 s[4:5], vcc
	s_xor_b64 s[4:5], exec, s[4:5]
	s_cbranch_execz .LBB11_502
; %bb.497:
	s_mov_b32 s6, 0x3c7fffff
	v_cmp_lt_u32_e32 vcc, s6, v6
                                        ; implicit-def: $vgpr3
	s_and_saveexec_b64 s[6:7], vcc
	s_xor_b64 s[6:7], exec, s[6:7]
; %bb.498:
	v_bfe_u32 v3, v2, 20, 1
	s_mov_b32 s8, 0x407ffff
	v_add3_u32 v3, v2, v3, s8
	v_lshrrev_b32_e32 v6, 20, v3
	v_and_b32_e32 v3, 0xff00000, v3
	s_mov_b32 s8, 0x7f00000
	v_mov_b32_e32 v7, 0x7e
	v_cmp_ne_u32_e32 vcc, s8, v3
	s_nop 1
	v_cndmask_b32_e32 v3, v7, v6, vcc
; %bb.499:
	s_andn2_saveexec_b64 s[6:7], s[6:7]
; %bb.500:
	s_mov_b32 s8, 0x46800000
	v_add_f32_e64 v3, |v2|, s8
; %bb.501:
	s_or_b64 exec, exec, s[6:7]
                                        ; implicit-def: $vgpr6
.LBB11_502:
	s_andn2_saveexec_b64 s[4:5], s[4:5]
; %bb.503:
	s_mov_b32 s6, 0x7f800000
	v_mov_b32_e32 v3, 0x7e
	v_mov_b32_e32 v7, 0x7f
	v_cmp_lt_u32_e32 vcc, s6, v6
	s_nop 1
	v_cndmask_b32_e32 v3, v3, v7, vcc
; %bb.504:
	s_or_b64 exec, exec, s[4:5]
	v_lshrrev_b32_e32 v2, 24, v2
	s_movk_i32 s4, 0x80
	v_and_or_b32 v2, v2, s4, v3
	global_store_byte v[4:5], v2, off
.LBB11_505:
	s_mov_b64 s[4:5], 0
.LBB11_506:
	s_andn2_b64 vcc, exec, s[4:5]
	s_cbranch_vccnz .LBB11_516
; %bb.507:
	v_cvt_f32_f64_e32 v2, v[0:1]
	v_and_b32_e32 v6, 0x7fffffff, v2
	s_mov_b32 s4, 0x47800000
	v_cmp_gt_u32_e32 vcc, s4, v6
                                        ; implicit-def: $vgpr3
	s_and_saveexec_b64 s[4:5], vcc
	s_xor_b64 s[4:5], exec, s[4:5]
	s_cbranch_execz .LBB11_513
; %bb.508:
	s_mov_b32 s6, 0x387fffff
	v_cmp_lt_u32_e32 vcc, s6, v6
                                        ; implicit-def: $vgpr3
	s_and_saveexec_b64 s[6:7], vcc
	s_xor_b64 s[6:7], exec, s[6:7]
; %bb.509:
	v_bfe_u32 v3, v2, 21, 1
	s_mov_b32 s8, 0x80fffff
	v_add3_u32 v3, v2, v3, s8
	v_lshrrev_b32_e32 v3, 21, v3
; %bb.510:
	s_andn2_saveexec_b64 s[6:7], s[6:7]
; %bb.511:
	s_mov_b32 s8, 0x43000000
	v_add_f32_e64 v3, |v2|, s8
; %bb.512:
	s_or_b64 exec, exec, s[6:7]
                                        ; implicit-def: $vgpr6
.LBB11_513:
	s_andn2_saveexec_b64 s[4:5], s[4:5]
; %bb.514:
	s_mov_b32 s6, 0x7f800000
	v_mov_b32_e32 v3, 0x7c
	v_mov_b32_e32 v7, 0x7f
	v_cmp_lt_u32_e32 vcc, s6, v6
	s_nop 1
	v_cndmask_b32_e32 v3, v3, v7, vcc
; %bb.515:
	s_or_b64 exec, exec, s[4:5]
	v_lshrrev_b32_e32 v2, 24, v2
	s_movk_i32 s4, 0x80
	v_and_or_b32 v2, v2, s4, v3
	global_store_byte v[4:5], v2, off
.LBB11_516:
	s_mov_b64 s[4:5], 0
.LBB11_517:
	s_andn2_b64 vcc, exec, s[4:5]
	s_mov_b64 s[4:5], 0
	s_cbranch_vccnz .LBB11_526
; %bb.518:
	s_cmp_gt_i32 s11, 14
	s_mov_b64 s[6:7], -1
	s_cbranch_scc0 .LBB11_522
; %bb.519:
	s_cmp_eq_u32 s11, 15
	s_mov_b64 s[0:1], -1
	s_cbranch_scc0 .LBB11_521
; %bb.520:
	v_cvt_f32_f64_e32 v2, v[0:1]
	v_bfe_u32 v3, v2, 16, 1
	s_movk_i32 s0, 0x7fff
	v_add3_u32 v3, v2, v3, s0
	v_cmp_o_f32_e32 vcc, v2, v2
	v_mov_b32_e32 v2, 0x7fc0
	s_mov_b64 s[0:1], 0
	v_cndmask_b32_sdwa v2, v2, v3, vcc dst_sel:DWORD dst_unused:UNUSED_PAD src0_sel:DWORD src1_sel:WORD_1
	global_store_short v[4:5], v2, off
.LBB11_521:
	s_mov_b64 s[6:7], 0
.LBB11_522:
	s_and_b64 vcc, exec, s[6:7]
	s_cbranch_vccz .LBB11_526
; %bb.523:
	s_cmp_lg_u32 s11, 11
	s_cselect_b64 s[6:7], -1, 0
	s_andn2_b64 s[0:1], s[0:1], exec
	s_and_b64 s[6:7], s[6:7], exec
	s_mov_b64 s[4:5], -1
	s_or_b64 s[0:1], s[0:1], s[6:7]
	s_branch .LBB11_526
.LBB11_524:
	s_mov_b64 s[4:5], 0
	s_mov_b64 s[2:3], -1
	s_mov_b64 s[0:1], s[72:73]
	s_branch .LBB11_526
.LBB11_525:
	s_mov_b64 s[4:5], 0
.LBB11_526:
	s_and_b64 s[6:7], s[2:3], exec
	s_and_b64 s[2:3], s[4:5], exec
	s_andn2_b64 s[4:5], s[72:73], exec
	s_and_b64 s[0:1], s[0:1], exec
	s_or_b64 s[4:5], s[4:5], s[0:1]
.LBB11_527:
	s_or_b64 exec, exec, s[74:75]
	s_and_b64 s[0:1], s[2:3], exec
	s_andn2_b64 s[2:3], s[72:73], exec
	s_and_b64 s[4:5], s[4:5], exec
	s_and_b64 s[6:7], s[6:7], exec
	s_or_b64 s[72:73], s[2:3], s[4:5]
.LBB11_528:
	s_or_b64 exec, exec, s[70:71]
	s_and_b64 s[2:3], s[6:7], exec
	s_andn2_b64 s[4:5], s[66:67], exec
	s_and_b64 s[6:7], s[72:73], exec
	s_and_b64 s[0:1], s[0:1], exec
	s_or_b64 s[66:67], s[4:5], s[6:7]
.LBB11_529:
	s_or_b64 exec, exec, s[68:69]
	s_and_b64 s[68:69], s[0:1], exec
	s_andn2_b64 s[0:1], s[62:63], exec
	s_and_b64 s[4:5], s[66:67], exec
	s_and_b64 s[2:3], s[2:3], exec
	s_or_b64 s[62:63], s[0:1], s[4:5]
	s_or_b64 exec, exec, s[64:65]
	s_mov_b64 s[0:1], 0
	s_and_saveexec_b64 s[4:5], s[62:63]
	s_cbranch_execz .LBB11_148
.LBB11_530:
	s_mov_b64 s[0:1], exec
	s_andn2_b64 s[68:69], s[68:69], exec
	s_trap 2
	s_or_b64 exec, exec, s[4:5]
	s_and_saveexec_b64 s[4:5], s[68:69]
	s_xor_b64 s[4:5], exec, s[4:5]
	s_cbranch_execnz .LBB11_149
.LBB11_531:
	s_or_b64 exec, exec, s[4:5]
	s_and_saveexec_b64 s[4:5], s[2:3]
	s_xor_b64 s[2:3], exec, s[4:5]
	s_cbranch_execz .LBB11_569
.LBB11_532:
	s_sext_i32_i16 s6, s10
	s_cmp_lt_i32 s6, 5
	s_mov_b64 s[4:5], -1
	s_cbranch_scc1 .LBB11_553
; %bb.533:
	s_cmp_lt_i32 s6, 8
	s_cbranch_scc1 .LBB11_543
; %bb.534:
	s_cmp_lt_i32 s6, 9
	s_cbranch_scc1 .LBB11_540
; %bb.535:
	s_cmp_gt_i32 s6, 9
	s_cbranch_scc0 .LBB11_537
; %bb.536:
	v_mov_b32_e32 v2, 0
	v_mov_b32_e32 v3, v2
	s_mov_b64 s[4:5], 0
	global_store_dwordx4 v[4:5], v[0:3], off
.LBB11_537:
	s_andn2_b64 vcc, exec, s[4:5]
	s_cbranch_vccnz .LBB11_539
; %bb.538:
	v_cvt_f32_f64_e32 v2, v[0:1]
	v_mov_b32_e32 v3, 0
	global_store_dwordx2 v[4:5], v[2:3], off
.LBB11_539:
	s_mov_b64 s[4:5], 0
.LBB11_540:
	s_andn2_b64 vcc, exec, s[4:5]
	s_cbranch_vccnz .LBB11_542
; %bb.541:
	s_movk_i32 s4, 0x1ff
	v_and_or_b32 v2, v1, s4, v0
	v_cmp_ne_u32_e32 vcc, 0, v2
	v_lshrrev_b32_e32 v3, 8, v1
	s_movk_i32 s4, 0xffe
	v_cndmask_b32_e64 v2, 0, 1, vcc
	v_bfe_u32 v6, v1, 20, 11
	v_and_or_b32 v2, v3, s4, v2
	v_sub_u32_e32 v7, 0x3f1, v6
	v_or_b32_e32 v3, 0x1000, v2
	v_med3_i32 v7, v7, 0, 13
	v_lshrrev_b32_e32 v8, v7, v3
	v_lshlrev_b32_e32 v7, v7, v8
	v_cmp_ne_u32_e32 vcc, v7, v3
	v_add_u32_e32 v6, 0xfffffc10, v6
	v_lshl_or_b32 v7, v6, 12, v2
	v_cndmask_b32_e64 v3, 0, 1, vcc
	v_or_b32_e32 v3, v8, v3
	v_cmp_gt_i32_e32 vcc, 1, v6
	s_movk_i32 s4, 0x40f
	s_nop 0
	v_cndmask_b32_e32 v3, v7, v3, vcc
	v_and_b32_e32 v7, 7, v3
	v_cmp_lt_i32_e32 vcc, 5, v7
	v_lshrrev_b32_e32 v3, 2, v3
	s_nop 0
	v_cndmask_b32_e64 v8, 0, 1, vcc
	v_cmp_eq_u32_e32 vcc, 3, v7
	s_nop 1
	v_cndmask_b32_e64 v7, 0, 1, vcc
	v_or_b32_e32 v7, v7, v8
	v_add_u32_e32 v3, v3, v7
	v_mov_b32_e32 v7, 0x7c00
	v_cmp_gt_i32_e32 vcc, 31, v6
	v_mov_b32_e32 v8, 0x7e00
	s_nop 0
	v_cndmask_b32_e32 v3, v7, v3, vcc
	v_cmp_ne_u32_e32 vcc, 0, v2
	s_nop 1
	v_cndmask_b32_e32 v2, v7, v8, vcc
	v_cmp_eq_u32_e32 vcc, s4, v6
	s_mov_b32 s4, 0x8000
	s_nop 0
	v_cndmask_b32_e32 v2, v3, v2, vcc
	v_and_b32_sdwa v3, v1, s4 dst_sel:DWORD dst_unused:UNUSED_PAD src0_sel:WORD_1 src1_sel:DWORD
	s_mov_b32 s4, 0xffff
	v_bitop3_b32 v2, v3, s4, v2 bitop3:0xc8
	global_store_dword v[4:5], v2, off
.LBB11_542:
	s_mov_b64 s[4:5], 0
.LBB11_543:
	s_andn2_b64 vcc, exec, s[4:5]
	s_cbranch_vccnz .LBB11_552
; %bb.544:
	s_sext_i32_i16 s6, s10
	s_cmp_lt_i32 s6, 6
	s_mov_b64 s[4:5], -1
	s_cbranch_scc1 .LBB11_550
; %bb.545:
	s_cmp_gt_i32 s6, 6
	s_cbranch_scc0 .LBB11_547
; %bb.546:
	s_mov_b64 s[4:5], 0
	global_store_dwordx2 v[4:5], v[0:1], off
.LBB11_547:
	s_andn2_b64 vcc, exec, s[4:5]
	s_cbranch_vccnz .LBB11_549
; %bb.548:
	v_cvt_f32_f64_e32 v2, v[0:1]
	global_store_dword v[4:5], v2, off
.LBB11_549:
	s_mov_b64 s[4:5], 0
.LBB11_550:
	s_andn2_b64 vcc, exec, s[4:5]
	s_cbranch_vccnz .LBB11_552
; %bb.551:
	s_movk_i32 s4, 0x1ff
	v_and_or_b32 v2, v1, s4, v0
	v_cmp_ne_u32_e32 vcc, 0, v2
	v_lshrrev_b32_e32 v3, 8, v1
	s_movk_i32 s4, 0xffe
	v_cndmask_b32_e64 v2, 0, 1, vcc
	v_bfe_u32 v6, v1, 20, 11
	v_and_or_b32 v2, v3, s4, v2
	v_sub_u32_e32 v7, 0x3f1, v6
	v_or_b32_e32 v3, 0x1000, v2
	v_med3_i32 v7, v7, 0, 13
	v_lshrrev_b32_e32 v8, v7, v3
	v_lshlrev_b32_e32 v7, v7, v8
	v_cmp_ne_u32_e32 vcc, v7, v3
	v_add_u32_e32 v6, 0xfffffc10, v6
	v_lshl_or_b32 v7, v6, 12, v2
	v_cndmask_b32_e64 v3, 0, 1, vcc
	v_or_b32_e32 v3, v8, v3
	v_cmp_gt_i32_e32 vcc, 1, v6
	s_movk_i32 s4, 0x40f
	s_nop 0
	v_cndmask_b32_e32 v3, v7, v3, vcc
	v_and_b32_e32 v7, 7, v3
	v_cmp_lt_i32_e32 vcc, 5, v7
	v_lshrrev_b32_e32 v3, 2, v3
	s_nop 0
	v_cndmask_b32_e64 v8, 0, 1, vcc
	v_cmp_eq_u32_e32 vcc, 3, v7
	s_nop 1
	v_cndmask_b32_e64 v7, 0, 1, vcc
	v_or_b32_e32 v7, v7, v8
	v_add_u32_e32 v3, v3, v7
	v_mov_b32_e32 v7, 0x7c00
	v_cmp_gt_i32_e32 vcc, 31, v6
	v_mov_b32_e32 v8, 0x7e00
	s_nop 0
	v_cndmask_b32_e32 v3, v7, v3, vcc
	v_cmp_ne_u32_e32 vcc, 0, v2
	s_nop 1
	v_cndmask_b32_e32 v2, v7, v8, vcc
	v_cmp_eq_u32_e32 vcc, s4, v6
	s_mov_b32 s4, 0x8000
	s_nop 0
	v_cndmask_b32_e32 v2, v3, v2, vcc
	v_lshrrev_b32_e32 v3, 16, v1
	v_and_or_b32 v2, v3, s4, v2
	global_store_short v[4:5], v2, off
.LBB11_552:
	s_mov_b64 s[4:5], 0
.LBB11_553:
	s_andn2_b64 vcc, exec, s[4:5]
	s_cbranch_vccnz .LBB11_569
; %bb.554:
	s_sext_i32_i16 s6, s10
	s_cmp_lt_i32 s6, 2
	s_mov_b64 s[4:5], -1
	s_cbranch_scc1 .LBB11_564
; %bb.555:
	s_cmp_lt_i32 s6, 3
	s_cbranch_scc1 .LBB11_561
; %bb.556:
	s_cmp_gt_i32 s6, 3
	s_cbranch_scc0 .LBB11_558
; %bb.557:
	v_trunc_f64_e32 v[2:3], v[0:1]
	s_movk_i32 s4, 0xffe0
	v_ldexp_f64 v[6:7], v[2:3], s4
	v_floor_f64_e32 v[6:7], v[6:7]
	v_fmac_f64_e32 v[2:3], 0xc1f00000, v[6:7]
	v_cvt_i32_f64_e32 v9, v[6:7]
	v_cvt_u32_f64_e32 v8, v[2:3]
	s_mov_b64 s[4:5], 0
	global_store_dwordx2 v[4:5], v[8:9], off
.LBB11_558:
	s_andn2_b64 vcc, exec, s[4:5]
	s_cbranch_vccnz .LBB11_560
; %bb.559:
	v_cvt_i32_f64_e32 v2, v[0:1]
	global_store_dword v[4:5], v2, off
.LBB11_560:
	s_mov_b64 s[4:5], 0
.LBB11_561:
	s_andn2_b64 vcc, exec, s[4:5]
	s_cbranch_vccnz .LBB11_563
; %bb.562:
	v_cvt_i32_f64_e32 v2, v[0:1]
	global_store_short v[4:5], v2, off
.LBB11_563:
	s_mov_b64 s[4:5], 0
.LBB11_564:
	s_andn2_b64 vcc, exec, s[4:5]
	s_cbranch_vccnz .LBB11_569
; %bb.565:
	s_sext_i32_i16 s4, s10
	s_cmp_gt_i32 s4, 0
	s_mov_b64 s[4:5], -1
	s_cbranch_scc0 .LBB11_567
; %bb.566:
	v_cvt_i32_f64_e32 v2, v[0:1]
	s_mov_b64 s[4:5], 0
	global_store_byte v[4:5], v2, off
.LBB11_567:
	s_andn2_b64 vcc, exec, s[4:5]
	s_cbranch_vccnz .LBB11_569
; %bb.568:
	v_trunc_f64_e32 v[0:1], v[0:1]
	s_movk_i32 s4, 0xffe0
	v_ldexp_f64 v[2:3], v[0:1], s4
	v_floor_f64_e32 v[2:3], v[2:3]
	v_fmac_f64_e32 v[0:1], 0xc1f00000, v[2:3]
	v_cvt_u32_f64_e32 v0, v[0:1]
	global_store_byte v[4:5], v0, off
.LBB11_569:
	s_or_b64 exec, exec, s[2:3]
	s_waitcnt lgkmcnt(0)
	s_and_b64 s[40:41], s[0:1], exec
                                        ; implicit-def: $vgpr6
                                        ; implicit-def: $vgpr40
.LBB11_570:
	s_or_saveexec_b64 s[42:43], s[52:53]
	s_mov_b64 s[0:1], 0
                                        ; implicit-def: $sgpr12
                                        ; implicit-def: $vgpr4_vgpr5
                                        ; implicit-def: $vgpr0_vgpr1
	s_xor_b64 exec, exec, s[42:43]
	s_cbranch_execz .LBB11_1059
; %bb.571:
	v_cndmask_b32_e64 v0, 0, 1, s[50:51]
	v_cmp_ne_u32_e64 s[0:1], 1, v0
	s_andn2_b64 vcc, exec, s[50:51]
	s_cbranch_vccnz .LBB11_577
; %bb.572:
	s_cmp_lg_u32 s33, 0
	s_mov_b32 s26, 0
	s_cbranch_scc0 .LBB11_578
; %bb.573:
	s_min_u32 s27, s76, 15
	s_add_i32 s27, s27, 1
	s_cmp_eq_u32 s76, 2
	s_cbranch_scc1 .LBB11_579
; %bb.574:
	s_and_b32 s26, s27, 28
	s_add_u32 s2, s34, 0xc4
	s_addc_u32 s3, s35, 0
	s_mov_b32 s30, 0
	v_mov_b32_e32 v52, 0
	v_mov_b32_e32 v2, 0
	s_mov_b64 s[24:25], s[34:35]
	v_mov_b32_e32 v0, v40
.LBB11_575:                             ; =>This Inner Loop Header: Depth=1
	s_load_dwordx8 s[12:19], s[24:25], 0x4
	s_load_dwordx4 s[20:23], s[24:25], 0x24
	s_load_dwordx8 s[4:11], s[2:3], 0x0
	s_add_u32 s24, s24, 48
	s_addc_u32 s25, s25, 0
	s_waitcnt lgkmcnt(0)
	v_mul_hi_u32 v1, s13, v0
	v_add_u32_e32 v1, v0, v1
	v_lshrrev_b32_e32 v1, s14, v1
	v_mul_lo_u32 v3, v1, s12
	v_mul_hi_u32 v4, s16, v1
	v_sub_u32_e32 v0, v0, v3
	v_add_u32_e32 v3, v1, v4
	v_lshrrev_b32_e32 v3, s17, v3
	v_mul_lo_u32 v5, v3, s15
	v_mul_hi_u32 v7, s19, v3
	v_sub_u32_e32 v1, v1, v5
	v_add_u32_e32 v5, v3, v7
	v_mul_lo_u32 v4, v0, s5
	v_mul_lo_u32 v0, v0, s4
	v_mul_lo_u32 v7, v1, s7
	v_mul_lo_u32 v1, v1, s6
	v_lshrrev_b32_e32 v5, s20, v5
	v_add3_u32 v1, v0, v52, v1
	v_add3_u32 v2, v4, v2, v7
	v_mul_lo_u32 v0, v5, s18
	v_mul_hi_u32 v4, s22, v5
	v_sub_u32_e32 v0, v3, v0
	v_add_u32_e32 v3, v5, v4
	v_mul_lo_u32 v4, v0, s8
	v_mul_lo_u32 v7, v0, s9
	v_lshrrev_b32_e32 v0, s23, v3
	s_add_i32 s30, s30, 4
	v_mul_lo_u32 v3, v0, s21
	s_add_u32 s2, s2, 32
	v_sub_u32_e32 v3, v5, v3
	s_addc_u32 s3, s3, 0
	v_mul_lo_u32 v5, v3, s10
	v_mul_lo_u32 v3, v3, s11
	s_cmp_lg_u32 s26, s30
	v_add3_u32 v2, v7, v2, v3
	v_add3_u32 v52, v4, v1, v5
	s_cbranch_scc1 .LBB11_575
; %bb.576:
	v_mov_b32_e32 v1, v2
	s_and_b32 s6, s27, 3
	s_cmp_eq_u32 s6, 0
	s_cbranch_scc0 .LBB11_580
	s_branch .LBB11_582
.LBB11_577:
                                        ; implicit-def: $vgpr2
                                        ; implicit-def: $vgpr52
	s_branch .LBB11_583
.LBB11_578:
	v_mov_b32_e32 v2, 0
	v_mov_b32_e32 v52, 0
	s_branch .LBB11_582
.LBB11_579:
	v_mov_b32_e32 v52, 0
                                        ; implicit-def: $vgpr2
	v_mov_b32_e32 v1, v52
	v_mov_b32_e32 v0, v40
	s_and_b32 s6, s27, 3
	s_cmp_eq_u32 s6, 0
	s_cbranch_scc1 .LBB11_582
.LBB11_580:
	s_lshl_b32 s2, s26, 3
	s_add_u32 s2, s34, s2
	s_addc_u32 s3, s35, 0
	s_add_u32 s2, s2, 0xc4
	s_addc_u32 s3, s3, 0
	s_mul_i32 s4, s26, 12
	s_add_u32 s4, s34, s4
	s_addc_u32 s5, s35, 0
.LBB11_581:                             ; =>This Inner Loop Header: Depth=1
	s_load_dwordx2 s[8:9], s[4:5], 0x4
	s_load_dword s7, s[4:5], 0xc
	s_load_dwordx2 s[10:11], s[2:3], 0x0
	v_mov_b32_e32 v2, v1
	s_add_u32 s4, s4, 12
	s_waitcnt lgkmcnt(0)
	v_mul_hi_u32 v1, s9, v0
	v_add_u32_e32 v1, v0, v1
	v_lshrrev_b32_e32 v1, s7, v1
	s_addc_u32 s5, s5, 0
	v_mul_lo_u32 v3, v1, s8
	s_add_u32 s2, s2, 8
	v_sub_u32_e32 v4, v0, v3
	s_addc_u32 s3, s3, 0
	s_add_i32 s6, s6, -1
	v_mad_u64_u32 v[2:3], s[8:9], v4, s11, v[2:3]
	s_cmp_lg_u32 s6, 0
	v_mov_b32_e32 v0, v1
	v_mad_u64_u32 v[52:53], s[8:9], v4, s10, v[52:53]
	v_mov_b32_e32 v1, v2
	s_cbranch_scc1 .LBB11_581
.LBB11_582:
	s_cbranch_execnz .LBB11_585
.LBB11_583:
	s_load_dwordx4 s[4:7], s[34:35], 0x4
	s_load_dwordx2 s[2:3], s[34:35], 0xc4
	s_cmp_lt_u32 s33, 2
	s_waitcnt lgkmcnt(0)
	v_mul_hi_u32 v0, s5, v40
	v_add_u32_e32 v0, v40, v0
	v_lshrrev_b32_e32 v0, s6, v0
	v_mul_lo_u32 v1, v0, s4
	v_sub_u32_e32 v1, v40, v1
	v_mul_lo_u32 v2, v1, s3
	v_mul_lo_u32 v52, v1, s2
	s_cbranch_scc1 .LBB11_585
; %bb.584:
	s_load_dwordx4 s[4:7], s[34:35], 0x10
	s_load_dwordx2 s[2:3], s[34:35], 0xcc
	s_waitcnt lgkmcnt(0)
	v_mul_hi_u32 v1, s5, v0
	v_add_u32_e32 v1, v0, v1
	v_lshrrev_b32_e32 v1, s6, v1
	v_mul_lo_u32 v1, v1, s4
	v_sub_u32_e32 v0, v0, v1
	v_mad_u64_u32 v[52:53], s[4:5], v0, s2, v[52:53]
	v_mad_u64_u32 v[2:3], s[2:3], v0, s3, v[2:3]
.LBB11_585:
	s_and_b64 vcc, exec, s[0:1]
	v_add_u32_e32 v0, 0x80, v40
	s_cbranch_vccnz .LBB11_591
; %bb.586:
	s_cmp_lg_u32 s33, 0
	s_mov_b32 s26, 0
	s_cbranch_scc0 .LBB11_592
; %bb.587:
	s_min_u32 s27, s76, 15
	s_add_i32 s27, s27, 1
	s_cmp_eq_u32 s76, 2
	s_cbranch_scc1 .LBB11_593
; %bb.588:
	s_and_b32 s26, s27, 28
	s_add_u32 s2, s34, 0xc4
	s_addc_u32 s3, s35, 0
	s_mov_b32 s30, 0
	v_mov_b32_e32 v50, 0
	v_mov_b32_e32 v36, 0
	s_mov_b64 s[24:25], s[34:35]
	v_mov_b32_e32 v3, v0
.LBB11_589:                             ; =>This Inner Loop Header: Depth=1
	s_load_dwordx8 s[12:19], s[24:25], 0x4
	s_load_dwordx4 s[20:23], s[24:25], 0x24
	s_load_dwordx8 s[4:11], s[2:3], 0x0
	s_add_u32 s24, s24, 48
	s_addc_u32 s25, s25, 0
	s_waitcnt lgkmcnt(0)
	v_mul_hi_u32 v1, s13, v3
	v_add_u32_e32 v1, v3, v1
	v_lshrrev_b32_e32 v1, s14, v1
	v_mul_lo_u32 v4, v1, s12
	v_mul_hi_u32 v5, s16, v1
	v_sub_u32_e32 v3, v3, v4
	v_add_u32_e32 v4, v1, v5
	v_lshrrev_b32_e32 v4, s17, v4
	v_mul_lo_u32 v7, v4, s15
	v_mul_hi_u32 v8, s19, v4
	v_sub_u32_e32 v1, v1, v7
	v_add_u32_e32 v7, v4, v8
	v_mul_lo_u32 v5, v3, s5
	v_mul_lo_u32 v3, v3, s4
	;; [unrolled: 1-line block ×4, first 2 shown]
	v_lshrrev_b32_e32 v7, s20, v7
	v_add3_u32 v1, v3, v50, v1
	v_add3_u32 v5, v5, v36, v8
	v_mul_lo_u32 v3, v7, s18
	v_mul_hi_u32 v8, s22, v7
	v_sub_u32_e32 v3, v4, v3
	v_add_u32_e32 v4, v7, v8
	v_mul_lo_u32 v8, v3, s8
	v_mul_lo_u32 v9, v3, s9
	v_lshrrev_b32_e32 v3, s23, v4
	s_add_i32 s30, s30, 4
	v_mul_lo_u32 v4, v3, s21
	s_add_u32 s2, s2, 32
	v_sub_u32_e32 v4, v7, v4
	s_addc_u32 s3, s3, 0
	v_mul_lo_u32 v7, v4, s10
	v_mul_lo_u32 v4, v4, s11
	s_cmp_lg_u32 s26, s30
	v_add3_u32 v36, v9, v5, v4
	v_add3_u32 v50, v8, v1, v7
	s_cbranch_scc1 .LBB11_589
; %bb.590:
	v_mov_b32_e32 v1, v36
	s_and_b32 s6, s27, 3
	s_cmp_eq_u32 s6, 0
	s_cbranch_scc0 .LBB11_594
	s_branch .LBB11_596
.LBB11_591:
                                        ; implicit-def: $vgpr36
                                        ; implicit-def: $vgpr50
	s_branch .LBB11_597
.LBB11_592:
	v_mov_b32_e32 v36, 0
	v_mov_b32_e32 v50, 0
	s_branch .LBB11_596
.LBB11_593:
	v_mov_b32_e32 v50, 0
                                        ; implicit-def: $vgpr36
	v_mov_b32_e32 v1, v50
	v_mov_b32_e32 v3, v0
	s_and_b32 s6, s27, 3
	s_cmp_eq_u32 s6, 0
	s_cbranch_scc1 .LBB11_596
.LBB11_594:
	s_lshl_b32 s2, s26, 3
	s_add_u32 s2, s34, s2
	s_addc_u32 s3, s35, 0
	s_add_u32 s2, s2, 0xc4
	s_addc_u32 s3, s3, 0
	s_mul_i32 s4, s26, 12
	s_add_u32 s4, s34, s4
	s_addc_u32 s5, s35, 0
.LBB11_595:                             ; =>This Inner Loop Header: Depth=1
	s_load_dwordx2 s[8:9], s[4:5], 0x4
	s_load_dword s7, s[4:5], 0xc
	s_load_dwordx2 s[10:11], s[2:3], 0x0
	v_mov_b32_e32 v4, v1
	s_add_u32 s4, s4, 12
	s_waitcnt lgkmcnt(0)
	v_mul_hi_u32 v1, s9, v3
	v_add_u32_e32 v1, v3, v1
	v_lshrrev_b32_e32 v1, s7, v1
	s_addc_u32 s5, s5, 0
	v_mul_lo_u32 v5, v1, s8
	s_add_u32 s2, s2, 8
	v_sub_u32_e32 v5, v3, v5
	s_addc_u32 s3, s3, 0
	s_add_i32 s6, s6, -1
	v_mad_u64_u32 v[36:37], s[8:9], v5, s11, v[4:5]
	s_cmp_lg_u32 s6, 0
	v_mov_b32_e32 v3, v1
	v_mad_u64_u32 v[50:51], s[8:9], v5, s10, v[50:51]
	v_mov_b32_e32 v1, v36
	s_cbranch_scc1 .LBB11_595
.LBB11_596:
	s_cbranch_execnz .LBB11_599
.LBB11_597:
	s_load_dwordx4 s[4:7], s[34:35], 0x4
	s_load_dwordx2 s[2:3], s[34:35], 0xc4
	s_cmp_lt_u32 s33, 2
	s_waitcnt lgkmcnt(0)
	v_mul_hi_u32 v1, s5, v0
	v_add_u32_e32 v1, v0, v1
	v_lshrrev_b32_e32 v1, s6, v1
	v_mul_lo_u32 v3, v1, s4
	v_sub_u32_e32 v0, v0, v3
	v_mul_lo_u32 v36, v0, s3
	v_mul_lo_u32 v50, v0, s2
	s_cbranch_scc1 .LBB11_599
; %bb.598:
	s_load_dwordx4 s[4:7], s[34:35], 0x10
	s_load_dwordx2 s[2:3], s[34:35], 0xcc
	s_waitcnt lgkmcnt(0)
	v_mul_hi_u32 v0, s5, v1
	v_add_u32_e32 v0, v1, v0
	v_lshrrev_b32_e32 v0, s6, v0
	v_mul_lo_u32 v0, v0, s4
	v_sub_u32_e32 v0, v1, v0
	v_mad_u64_u32 v[50:51], s[4:5], v0, s2, v[50:51]
	v_mad_u64_u32 v[36:37], s[2:3], v0, s3, v[36:37]
.LBB11_599:
	s_and_b64 vcc, exec, s[0:1]
	v_add_u32_e32 v0, 0x100, v40
	s_cbranch_vccnz .LBB11_605
; %bb.600:
	s_cmp_lg_u32 s33, 0
	s_mov_b32 s26, 0
	s_cbranch_scc0 .LBB11_606
; %bb.601:
	s_min_u32 s27, s76, 15
	s_add_i32 s27, s27, 1
	s_cmp_eq_u32 s76, 2
	s_cbranch_scc1 .LBB11_607
; %bb.602:
	s_and_b32 s26, s27, 28
	s_add_u32 s2, s34, 0xc4
	s_addc_u32 s3, s35, 0
	s_mov_b32 s30, 0
	v_mov_b32_e32 v48, 0
	v_mov_b32_e32 v42, 0
	s_mov_b64 s[24:25], s[34:35]
	v_mov_b32_e32 v3, v0
.LBB11_603:                             ; =>This Inner Loop Header: Depth=1
	s_load_dwordx8 s[12:19], s[24:25], 0x4
	s_load_dwordx4 s[20:23], s[24:25], 0x24
	s_load_dwordx8 s[4:11], s[2:3], 0x0
	s_add_u32 s24, s24, 48
	s_addc_u32 s25, s25, 0
	s_waitcnt lgkmcnt(0)
	v_mul_hi_u32 v1, s13, v3
	v_add_u32_e32 v1, v3, v1
	v_lshrrev_b32_e32 v1, s14, v1
	v_mul_lo_u32 v4, v1, s12
	v_mul_hi_u32 v5, s16, v1
	v_sub_u32_e32 v3, v3, v4
	v_add_u32_e32 v4, v1, v5
	v_lshrrev_b32_e32 v4, s17, v4
	v_mul_lo_u32 v7, v4, s15
	v_mul_hi_u32 v8, s19, v4
	v_sub_u32_e32 v1, v1, v7
	v_add_u32_e32 v7, v4, v8
	v_mul_lo_u32 v5, v3, s5
	v_mul_lo_u32 v3, v3, s4
	;; [unrolled: 1-line block ×4, first 2 shown]
	v_lshrrev_b32_e32 v7, s20, v7
	v_add3_u32 v1, v3, v48, v1
	v_add3_u32 v5, v5, v42, v8
	v_mul_lo_u32 v3, v7, s18
	v_mul_hi_u32 v8, s22, v7
	v_sub_u32_e32 v3, v4, v3
	v_add_u32_e32 v4, v7, v8
	v_mul_lo_u32 v8, v3, s8
	v_mul_lo_u32 v9, v3, s9
	v_lshrrev_b32_e32 v3, s23, v4
	s_add_i32 s30, s30, 4
	v_mul_lo_u32 v4, v3, s21
	s_add_u32 s2, s2, 32
	v_sub_u32_e32 v4, v7, v4
	s_addc_u32 s3, s3, 0
	v_mul_lo_u32 v7, v4, s10
	v_mul_lo_u32 v4, v4, s11
	s_cmp_lg_u32 s26, s30
	v_add3_u32 v42, v9, v5, v4
	v_add3_u32 v48, v8, v1, v7
	s_cbranch_scc1 .LBB11_603
; %bb.604:
	v_mov_b32_e32 v1, v42
	s_and_b32 s6, s27, 3
	s_cmp_eq_u32 s6, 0
	s_cbranch_scc0 .LBB11_608
	s_branch .LBB11_610
.LBB11_605:
                                        ; implicit-def: $vgpr42
                                        ; implicit-def: $vgpr48
	s_branch .LBB11_611
.LBB11_606:
	v_mov_b32_e32 v42, 0
	v_mov_b32_e32 v48, 0
	s_branch .LBB11_610
.LBB11_607:
	v_mov_b32_e32 v48, 0
                                        ; implicit-def: $vgpr42
	v_mov_b32_e32 v1, v48
	v_mov_b32_e32 v3, v0
	s_and_b32 s6, s27, 3
	s_cmp_eq_u32 s6, 0
	s_cbranch_scc1 .LBB11_610
.LBB11_608:
	s_lshl_b32 s2, s26, 3
	s_add_u32 s2, s34, s2
	s_addc_u32 s3, s35, 0
	s_add_u32 s2, s2, 0xc4
	s_addc_u32 s3, s3, 0
	s_mul_i32 s4, s26, 12
	s_add_u32 s4, s34, s4
	s_addc_u32 s5, s35, 0
.LBB11_609:                             ; =>This Inner Loop Header: Depth=1
	s_load_dwordx2 s[8:9], s[4:5], 0x4
	s_load_dword s7, s[4:5], 0xc
	s_load_dwordx2 s[10:11], s[2:3], 0x0
	v_mov_b32_e32 v4, v1
	s_add_u32 s4, s4, 12
	s_waitcnt lgkmcnt(0)
	v_mul_hi_u32 v1, s9, v3
	v_add_u32_e32 v1, v3, v1
	v_lshrrev_b32_e32 v1, s7, v1
	s_addc_u32 s5, s5, 0
	v_mul_lo_u32 v5, v1, s8
	s_add_u32 s2, s2, 8
	v_sub_u32_e32 v5, v3, v5
	s_addc_u32 s3, s3, 0
	s_add_i32 s6, s6, -1
	v_mad_u64_u32 v[42:43], s[8:9], v5, s11, v[4:5]
	s_cmp_lg_u32 s6, 0
	v_mov_b32_e32 v3, v1
	v_mad_u64_u32 v[48:49], s[8:9], v5, s10, v[48:49]
	v_mov_b32_e32 v1, v42
	s_cbranch_scc1 .LBB11_609
.LBB11_610:
	s_cbranch_execnz .LBB11_613
.LBB11_611:
	s_load_dwordx4 s[4:7], s[34:35], 0x4
	s_load_dwordx2 s[2:3], s[34:35], 0xc4
	s_cmp_lt_u32 s33, 2
	s_waitcnt lgkmcnt(0)
	v_mul_hi_u32 v1, s5, v0
	v_add_u32_e32 v1, v0, v1
	v_lshrrev_b32_e32 v1, s6, v1
	v_mul_lo_u32 v3, v1, s4
	v_sub_u32_e32 v0, v0, v3
	v_mul_lo_u32 v42, v0, s3
	v_mul_lo_u32 v48, v0, s2
	s_cbranch_scc1 .LBB11_613
; %bb.612:
	s_load_dwordx4 s[4:7], s[34:35], 0x10
	s_load_dwordx2 s[2:3], s[34:35], 0xcc
	s_waitcnt lgkmcnt(0)
	v_mul_hi_u32 v0, s5, v1
	v_add_u32_e32 v0, v1, v0
	v_lshrrev_b32_e32 v0, s6, v0
	v_mul_lo_u32 v0, v0, s4
	v_sub_u32_e32 v0, v1, v0
	v_mad_u64_u32 v[48:49], s[4:5], v0, s2, v[48:49]
	v_mad_u64_u32 v[42:43], s[2:3], v0, s3, v[42:43]
.LBB11_613:
	s_and_b64 vcc, exec, s[0:1]
	s_cbranch_vccnz .LBB11_619
; %bb.614:
	s_cmp_lg_u32 s33, 0
	s_mov_b32 s24, 0
	s_cbranch_scc0 .LBB11_620
; %bb.615:
	s_min_u32 s25, s76, 15
	s_add_i32 s25, s25, 1
	s_cmp_eq_u32 s76, 2
	s_cbranch_scc1 .LBB11_621
; %bb.616:
	s_and_b32 s24, s25, 28
	s_add_u32 s20, s34, 0xc4
	s_addc_u32 s21, s35, 0
	s_mov_b32 s26, 0
	v_mov_b32_e32 v46, 0
	v_mov_b32_e32 v44, 0
	s_mov_b64 s[22:23], s[34:35]
	v_mov_b32_e32 v0, v6
.LBB11_617:                             ; =>This Inner Loop Header: Depth=1
	s_load_dwordx8 s[8:15], s[22:23], 0x4
	s_load_dwordx4 s[16:19], s[22:23], 0x24
	s_load_dwordx8 s[0:7], s[20:21], 0x0
	s_add_u32 s22, s22, 48
	s_addc_u32 s23, s23, 0
	s_waitcnt lgkmcnt(0)
	v_mul_hi_u32 v1, s9, v0
	v_add_u32_e32 v1, v0, v1
	v_lshrrev_b32_e32 v1, s10, v1
	v_mul_lo_u32 v3, v1, s8
	v_mul_hi_u32 v4, s12, v1
	v_sub_u32_e32 v0, v0, v3
	v_add_u32_e32 v3, v1, v4
	v_lshrrev_b32_e32 v3, s13, v3
	v_mul_lo_u32 v5, v3, s11
	v_mul_hi_u32 v7, s15, v3
	v_sub_u32_e32 v1, v1, v5
	v_add_u32_e32 v5, v3, v7
	v_mul_lo_u32 v4, v0, s1
	v_mul_lo_u32 v0, v0, s0
	;; [unrolled: 1-line block ×4, first 2 shown]
	v_lshrrev_b32_e32 v5, s16, v5
	v_add3_u32 v1, v0, v46, v1
	v_add3_u32 v4, v4, v44, v7
	v_mul_lo_u32 v0, v5, s14
	v_mul_hi_u32 v7, s18, v5
	v_sub_u32_e32 v0, v3, v0
	v_add_u32_e32 v3, v5, v7
	v_mul_lo_u32 v7, v0, s4
	v_mul_lo_u32 v8, v0, s5
	v_lshrrev_b32_e32 v0, s19, v3
	s_add_i32 s26, s26, 4
	v_mul_lo_u32 v3, v0, s17
	s_add_u32 s20, s20, 32
	v_sub_u32_e32 v3, v5, v3
	s_addc_u32 s21, s21, 0
	v_mul_lo_u32 v5, v3, s6
	v_mul_lo_u32 v3, v3, s7
	s_cmp_lg_u32 s24, s26
	v_add3_u32 v44, v8, v4, v3
	v_add3_u32 v46, v7, v1, v5
	s_cbranch_scc1 .LBB11_617
; %bb.618:
	v_mov_b32_e32 v1, v44
	s_and_b32 s4, s25, 3
	s_cmp_eq_u32 s4, 0
	s_cbranch_scc0 .LBB11_622
	s_branch .LBB11_624
.LBB11_619:
                                        ; implicit-def: $vgpr44
                                        ; implicit-def: $vgpr46
	s_branch .LBB11_625
.LBB11_620:
	v_mov_b32_e32 v44, 0
	v_mov_b32_e32 v46, 0
	s_branch .LBB11_624
.LBB11_621:
	v_mov_b32_e32 v46, 0
                                        ; implicit-def: $vgpr44
	v_mov_b32_e32 v1, v46
	v_mov_b32_e32 v0, v6
	s_and_b32 s4, s25, 3
	s_cmp_eq_u32 s4, 0
	s_cbranch_scc1 .LBB11_624
.LBB11_622:
	s_lshl_b32 s0, s24, 3
	s_add_u32 s0, s34, s0
	s_addc_u32 s1, s35, 0
	s_add_u32 s0, s0, 0xc4
	s_addc_u32 s1, s1, 0
	s_mul_i32 s2, s24, 12
	s_add_u32 s2, s34, s2
	s_addc_u32 s3, s35, 0
.LBB11_623:                             ; =>This Inner Loop Header: Depth=1
	s_load_dwordx2 s[6:7], s[2:3], 0x4
	s_load_dword s5, s[2:3], 0xc
	s_load_dwordx2 s[8:9], s[0:1], 0x0
	v_mov_b32_e32 v4, v1
	s_add_u32 s2, s2, 12
	s_waitcnt lgkmcnt(0)
	v_mul_hi_u32 v1, s7, v0
	v_add_u32_e32 v1, v0, v1
	v_lshrrev_b32_e32 v1, s5, v1
	s_addc_u32 s3, s3, 0
	v_mul_lo_u32 v3, v1, s6
	s_add_u32 s0, s0, 8
	v_sub_u32_e32 v3, v0, v3
	s_addc_u32 s1, s1, 0
	s_add_i32 s4, s4, -1
	v_mad_u64_u32 v[44:45], s[6:7], v3, s9, v[4:5]
	s_cmp_lg_u32 s4, 0
	v_mov_b32_e32 v0, v1
	v_mad_u64_u32 v[46:47], s[6:7], v3, s8, v[46:47]
	v_mov_b32_e32 v1, v44
	s_cbranch_scc1 .LBB11_623
.LBB11_624:
	s_cbranch_execnz .LBB11_627
.LBB11_625:
	s_load_dwordx4 s[0:3], s[34:35], 0x4
	s_load_dwordx2 s[4:5], s[34:35], 0xc4
	s_cmp_lt_u32 s33, 2
	s_waitcnt lgkmcnt(0)
	v_mul_hi_u32 v0, s1, v6
	v_add_u32_e32 v0, v6, v0
	v_lshrrev_b32_e32 v0, s2, v0
	v_mul_lo_u32 v1, v0, s0
	v_sub_u32_e32 v1, v6, v1
	v_mul_lo_u32 v44, v1, s5
	v_mul_lo_u32 v46, v1, s4
	s_cbranch_scc1 .LBB11_627
; %bb.626:
	s_load_dwordx4 s[0:3], s[34:35], 0x10
	s_load_dwordx2 s[4:5], s[34:35], 0xcc
	s_waitcnt lgkmcnt(0)
	v_mul_hi_u32 v1, s1, v0
	v_add_u32_e32 v1, v0, v1
	v_lshrrev_b32_e32 v1, s2, v1
	v_mul_lo_u32 v1, v1, s0
	v_sub_u32_e32 v0, v0, v1
	v_mad_u64_u32 v[46:47], s[0:1], v0, s4, v[46:47]
	v_mad_u64_u32 v[44:45], s[0:1], v0, s5, v[44:45]
.LBB11_627:
	s_load_dword s33, s[28:29], 0x160
	s_load_dwordx4 s[36:39], s[34:35], 0x148
	s_getpc_b64 s[28:29]
	s_add_u32 s28, s28, _ZN2at6native6invokeIZZZNS0_12_GLOBAL__N_121bessel_y1_kernel_cudaERNS_18TensorIteratorBaseEENKUlvE_clEvENKUlvE_clEvEUldE_j15function_traitsIS7_EEENT1_11result_typeERKT_PrKPcPKT0_PKN3c1010ScalarTypeEi@rel32@lo+4
	s_addc_u32 s29, s29, _ZN2at6native6invokeIZZZNS0_12_GLOBAL__N_121bessel_y1_kernel_cudaERNS_18TensorIteratorBaseEENKUlvE_clEvENKUlvE_clEvEUldE_j15function_traitsIS7_EEENT1_11result_typeERKT_PrKPcPKT0_PKN3c1010ScalarTypeEi@rel32@hi+12
	s_waitcnt lgkmcnt(0)
	s_lshr_b32 s34, s33, 16
	v_mov_b32_e32 v0, s38
	v_mov_b32_e32 v1, s39
	v_mov_b32_e32 v3, s34
	s_swappc_b64 s[30:31], s[28:29]
	v_mov_b32_e32 v40, v0
	v_mov_b32_e32 v41, v1
	v_mov_b32_e32 v0, s38
	v_mov_b32_e32 v1, s39
	v_mov_b32_e32 v2, v36
	v_mov_b32_e32 v3, s34
	s_swappc_b64 s[30:31], s[28:29]
	v_mov_b32_e32 v38, v0
	v_mov_b32_e32 v39, v1
	v_mov_b32_e32 v0, s38
	;; [unrolled: 7-line block ×3, first 2 shown]
	v_mov_b32_e32 v1, s39
	v_mov_b32_e32 v2, v44
	;; [unrolled: 1-line block ×3, first 2 shown]
	s_swappc_b64 s[30:31], s[28:29]
	v_mov_b32_e32 v53, 0
	s_bfe_u32 s10, s33, 0x80008
	s_cmp_lt_i32 s10, 11
	v_lshl_add_u64 v[2:3], s[36:37], 0, v[52:53]
	s_cbranch_scc1 .LBB11_706
; %bb.628:
	s_and_b32 s11, 0xffff, s10
	s_mov_b64 s[2:3], -1
	s_mov_b64 s[4:5], 0
	s_cmp_gt_i32 s11, 25
	s_mov_b64 s[6:7], 0
	s_mov_b64 s[0:1], 0
	s_cbranch_scc0 .LBB11_661
; %bb.629:
	s_cmp_gt_i32 s11, 28
	s_cbranch_scc0 .LBB11_644
; %bb.630:
	s_cmp_gt_i32 s11, 43
	;; [unrolled: 3-line block ×3, first 2 shown]
	s_cbranch_scc0 .LBB11_634
; %bb.632:
	s_mov_b64 s[0:1], -1
	s_mov_b64 s[2:3], 0
	s_cmp_eq_u32 s11, 46
	s_cbranch_scc0 .LBB11_634
; %bb.633:
	v_cvt_f32_f64_e32 v4, v[40:41]
	v_bfe_u32 v5, v4, 16, 1
	s_movk_i32 s0, 0x7fff
	v_add3_u32 v5, v4, v5, s0
	v_cmp_o_f32_e32 vcc, v4, v4
	v_mov_b32_e32 v4, 0x7fc0
	s_mov_b64 s[0:1], 0
	v_cndmask_b32_sdwa v4, v4, v5, vcc dst_sel:DWORD dst_unused:UNUSED_PAD src0_sel:DWORD src1_sel:WORD_1
	global_store_dword v[2:3], v4, off
	s_mov_b64 s[6:7], -1
.LBB11_634:
	s_and_b64 vcc, exec, s[2:3]
	s_cbranch_vccz .LBB11_639
; %bb.635:
	s_cmp_eq_u32 s11, 44
	s_mov_b64 s[0:1], -1
	s_cbranch_scc0 .LBB11_639
; %bb.636:
	v_cvt_f32_f64_e32 v4, v[40:41]
	v_bfe_u32 v5, v4, 23, 8
	s_movk_i32 s0, 0xff
	v_cmp_ne_u32_e32 vcc, s0, v5
	v_mov_b32_e32 v6, 0xff
	s_and_saveexec_b64 s[2:3], vcc
; %bb.637:
	s_mov_b32 s0, 0x3fffff
	v_lshrrev_b32_e32 v6, 23, v4
	v_and_b32_e32 v7, 0x400000, v4
	v_and_or_b32 v4, v4, s0, v5
	v_cmp_ne_u32_e32 vcc, 0, v7
	v_cmp_ne_u32_e64 s[0:1], 0, v4
	s_and_b64 s[0:1], vcc, s[0:1]
	s_nop 0
	v_cndmask_b32_e64 v4, 0, 1, s[0:1]
	v_add_u32_e32 v6, v6, v4
; %bb.638:
	s_or_b64 exec, exec, s[2:3]
	s_mov_b64 s[0:1], 0
	s_mov_b64 s[6:7], -1
	global_store_byte v[2:3], v6, off
.LBB11_639:
	s_mov_b64 s[2:3], 0
.LBB11_640:
	s_and_b64 vcc, exec, s[2:3]
	s_cbranch_vccz .LBB11_643
; %bb.641:
	s_cmp_eq_u32 s11, 29
	s_mov_b64 s[0:1], -1
	s_cbranch_scc0 .LBB11_643
; %bb.642:
	v_trunc_f64_e32 v[4:5], v[40:41]
	s_movk_i32 s0, 0xffe0
	v_ldexp_f64 v[6:7], v[4:5], s0
	v_floor_f64_e32 v[6:7], v[6:7]
	v_fmac_f64_e32 v[4:5], 0xc1f00000, v[6:7]
	v_cvt_u32_f64_e32 v9, v[6:7]
	v_cvt_u32_f64_e32 v8, v[4:5]
	global_store_dwordx2 v[2:3], v[8:9], off
	s_mov_b64 s[0:1], 0
	s_mov_b64 s[6:7], -1
.LBB11_643:
	s_mov_b64 s[2:3], 0
.LBB11_644:
	s_and_b64 vcc, exec, s[2:3]
	s_cbranch_vccz .LBB11_660
; %bb.645:
	s_cmp_lt_i32 s11, 27
	s_mov_b64 s[2:3], -1
	s_cbranch_scc1 .LBB11_651
; %bb.646:
	s_cmp_gt_i32 s11, 27
	s_cbranch_scc0 .LBB11_648
; %bb.647:
	v_cvt_u32_f64_e32 v4, v[40:41]
	s_mov_b64 s[2:3], 0
	global_store_dword v[2:3], v4, off
.LBB11_648:
	s_andn2_b64 vcc, exec, s[2:3]
	s_cbranch_vccnz .LBB11_650
; %bb.649:
	v_cvt_u32_f64_e32 v4, v[40:41]
	global_store_short v[2:3], v4, off
.LBB11_650:
	s_mov_b64 s[2:3], 0
.LBB11_651:
	s_andn2_b64 vcc, exec, s[2:3]
	s_cbranch_vccnz .LBB11_659
; %bb.652:
	v_cvt_f32_f64_e32 v4, v[40:41]
	v_and_b32_e32 v5, 0x7fffffff, v4
	s_mov_b32 s2, 0x43800000
	v_cmp_gt_u32_e32 vcc, s2, v5
	v_mov_b32_e32 v6, 0x80
	s_and_saveexec_b64 s[2:3], vcc
	s_cbranch_execz .LBB11_658
; %bb.653:
	s_mov_b32 s6, 0x3bffffff
	v_cmp_lt_u32_e32 vcc, s6, v5
	s_mov_b64 s[6:7], 0
                                        ; implicit-def: $vgpr5
	s_and_saveexec_b64 s[8:9], vcc
	s_xor_b64 s[8:9], exec, s[8:9]
	s_cbranch_execz .LBB11_1103
; %bb.654:
	v_bfe_u32 v5, v4, 20, 1
	s_mov_b32 s12, 0x487ffff
	v_add3_u32 v5, v4, v5, s12
	s_mov_b64 s[6:7], exec
	v_lshrrev_b32_e32 v5, 20, v5
	s_andn2_saveexec_b64 s[8:9], s[8:9]
	s_cbranch_execnz .LBB11_1104
.LBB11_655:
	s_or_b64 exec, exec, s[8:9]
	v_mov_b32_e32 v6, 0
	s_and_saveexec_b64 s[8:9], s[6:7]
.LBB11_656:
	v_lshrrev_b32_e32 v4, 24, v4
	s_movk_i32 s6, 0x80
	v_and_or_b32 v6, v4, s6, v5
.LBB11_657:
	s_or_b64 exec, exec, s[8:9]
.LBB11_658:
	s_or_b64 exec, exec, s[2:3]
	global_store_byte v[2:3], v6, off
.LBB11_659:
	s_mov_b64 s[6:7], -1
.LBB11_660:
	s_mov_b64 s[2:3], 0
.LBB11_661:
	s_and_b64 vcc, exec, s[2:3]
	s_cbranch_vccz .LBB11_701
; %bb.662:
	s_cmp_gt_i32 s11, 22
	s_mov_b64 s[2:3], -1
	s_cbranch_scc0 .LBB11_694
; %bb.663:
	s_cmp_lt_i32 s11, 24
	s_cbranch_scc1 .LBB11_683
; %bb.664:
	s_cmp_gt_i32 s11, 24
	s_cbranch_scc0 .LBB11_672
; %bb.665:
	v_cvt_f32_f64_e32 v4, v[40:41]
	v_and_b32_e32 v5, 0x7fffffff, v4
	s_mov_b32 s2, 0x47800000
	v_cmp_gt_u32_e32 vcc, s2, v5
	v_mov_b32_e32 v6, 0x80
	s_and_saveexec_b64 s[2:3], vcc
	s_cbranch_execz .LBB11_671
; %bb.666:
	s_mov_b32 s4, 0x37ffffff
	v_cmp_lt_u32_e32 vcc, s4, v5
	s_mov_b64 s[4:5], 0
                                        ; implicit-def: $vgpr5
	s_and_saveexec_b64 s[6:7], vcc
	s_xor_b64 s[6:7], exec, s[6:7]
	s_cbranch_execz .LBB11_1106
; %bb.667:
	v_bfe_u32 v5, v4, 21, 1
	s_mov_b32 s8, 0x88fffff
	v_add3_u32 v5, v4, v5, s8
	s_mov_b64 s[4:5], exec
	v_lshrrev_b32_e32 v5, 21, v5
	s_andn2_saveexec_b64 s[6:7], s[6:7]
	s_cbranch_execnz .LBB11_1107
.LBB11_668:
	s_or_b64 exec, exec, s[6:7]
	v_mov_b32_e32 v6, 0
	s_and_saveexec_b64 s[6:7], s[4:5]
.LBB11_669:
	v_lshrrev_b32_e32 v4, 24, v4
	s_movk_i32 s4, 0x80
	v_and_or_b32 v6, v4, s4, v5
.LBB11_670:
	s_or_b64 exec, exec, s[6:7]
.LBB11_671:
	s_or_b64 exec, exec, s[2:3]
	s_mov_b64 s[2:3], 0
	global_store_byte v[2:3], v6, off
.LBB11_672:
	s_and_b64 vcc, exec, s[2:3]
	s_cbranch_vccz .LBB11_682
; %bb.673:
	v_cvt_f32_f64_e32 v4, v[40:41]
	v_and_b32_e32 v6, 0x7fffffff, v4
	s_mov_b32 s2, 0x43f00000
	v_cmp_gt_u32_e32 vcc, s2, v6
                                        ; implicit-def: $vgpr5
	s_and_saveexec_b64 s[2:3], vcc
	s_xor_b64 s[2:3], exec, s[2:3]
	s_cbranch_execz .LBB11_679
; %bb.674:
	s_mov_b32 s4, 0x3c7fffff
	v_cmp_lt_u32_e32 vcc, s4, v6
                                        ; implicit-def: $vgpr5
	s_and_saveexec_b64 s[4:5], vcc
	s_xor_b64 s[4:5], exec, s[4:5]
; %bb.675:
	v_bfe_u32 v5, v4, 20, 1
	s_mov_b32 s6, 0x407ffff
	v_add3_u32 v5, v4, v5, s6
	v_lshrrev_b32_e32 v6, 20, v5
	v_and_b32_e32 v5, 0xff00000, v5
	s_mov_b32 s6, 0x7f00000
	v_mov_b32_e32 v7, 0x7e
	v_cmp_ne_u32_e32 vcc, s6, v5
	s_nop 1
	v_cndmask_b32_e32 v5, v7, v6, vcc
; %bb.676:
	s_andn2_saveexec_b64 s[4:5], s[4:5]
; %bb.677:
	s_mov_b32 s6, 0x46800000
	v_add_f32_e64 v5, |v4|, s6
; %bb.678:
	s_or_b64 exec, exec, s[4:5]
                                        ; implicit-def: $vgpr6
.LBB11_679:
	s_andn2_saveexec_b64 s[2:3], s[2:3]
; %bb.680:
	s_mov_b32 s4, 0x7f800000
	v_mov_b32_e32 v5, 0x7e
	v_mov_b32_e32 v7, 0x7f
	v_cmp_lt_u32_e32 vcc, s4, v6
	s_nop 1
	v_cndmask_b32_e32 v5, v5, v7, vcc
; %bb.681:
	s_or_b64 exec, exec, s[2:3]
	v_lshrrev_b32_e32 v4, 24, v4
	s_movk_i32 s2, 0x80
	v_and_or_b32 v4, v4, s2, v5
	global_store_byte v[2:3], v4, off
.LBB11_682:
	s_mov_b64 s[2:3], 0
.LBB11_683:
	s_andn2_b64 vcc, exec, s[2:3]
	s_cbranch_vccnz .LBB11_693
; %bb.684:
	v_cvt_f32_f64_e32 v4, v[40:41]
	v_and_b32_e32 v6, 0x7fffffff, v4
	s_mov_b32 s2, 0x47800000
	v_cmp_gt_u32_e32 vcc, s2, v6
                                        ; implicit-def: $vgpr5
	s_and_saveexec_b64 s[2:3], vcc
	s_xor_b64 s[2:3], exec, s[2:3]
	s_cbranch_execz .LBB11_690
; %bb.685:
	s_mov_b32 s4, 0x387fffff
	v_cmp_lt_u32_e32 vcc, s4, v6
                                        ; implicit-def: $vgpr5
	s_and_saveexec_b64 s[4:5], vcc
	s_xor_b64 s[4:5], exec, s[4:5]
; %bb.686:
	v_bfe_u32 v5, v4, 21, 1
	s_mov_b32 s6, 0x80fffff
	v_add3_u32 v5, v4, v5, s6
	v_lshrrev_b32_e32 v5, 21, v5
; %bb.687:
	s_andn2_saveexec_b64 s[4:5], s[4:5]
; %bb.688:
	s_mov_b32 s6, 0x43000000
	v_add_f32_e64 v5, |v4|, s6
; %bb.689:
	s_or_b64 exec, exec, s[4:5]
                                        ; implicit-def: $vgpr6
.LBB11_690:
	s_andn2_saveexec_b64 s[2:3], s[2:3]
; %bb.691:
	s_mov_b32 s4, 0x7f800000
	v_mov_b32_e32 v5, 0x7c
	v_mov_b32_e32 v7, 0x7f
	v_cmp_lt_u32_e32 vcc, s4, v6
	s_nop 1
	v_cndmask_b32_e32 v5, v5, v7, vcc
; %bb.692:
	s_or_b64 exec, exec, s[2:3]
	v_lshrrev_b32_e32 v4, 24, v4
	s_movk_i32 s2, 0x80
	v_and_or_b32 v4, v4, s2, v5
	global_store_byte v[2:3], v4, off
.LBB11_693:
	s_mov_b64 s[2:3], 0
	s_mov_b64 s[6:7], -1
.LBB11_694:
	s_andn2_b64 vcc, exec, s[2:3]
	s_mov_b64 s[4:5], 0
	s_cbranch_vccnz .LBB11_701
; %bb.695:
	s_cmp_gt_i32 s11, 14
	s_mov_b64 s[2:3], -1
	s_cbranch_scc0 .LBB11_699
; %bb.696:
	s_cmp_eq_u32 s11, 15
	s_mov_b64 s[0:1], -1
	s_cbranch_scc0 .LBB11_698
; %bb.697:
	v_cvt_f32_f64_e32 v4, v[40:41]
	v_bfe_u32 v5, v4, 16, 1
	s_movk_i32 s0, 0x7fff
	v_add3_u32 v5, v4, v5, s0
	v_cmp_o_f32_e32 vcc, v4, v4
	v_mov_b32_e32 v4, 0x7fc0
	s_mov_b64 s[0:1], 0
	v_cndmask_b32_sdwa v4, v4, v5, vcc dst_sel:DWORD dst_unused:UNUSED_PAD src0_sel:DWORD src1_sel:WORD_1
	global_store_short v[2:3], v4, off
	s_mov_b64 s[6:7], -1
.LBB11_698:
	s_mov_b64 s[2:3], 0
.LBB11_699:
	s_and_b64 vcc, exec, s[2:3]
	s_cbranch_vccz .LBB11_701
; %bb.700:
	s_cmp_lg_u32 s11, 11
	s_mov_b64 s[4:5], -1
	s_cselect_b64 s[0:1], -1, 0
.LBB11_701:
	s_and_b64 vcc, exec, s[0:1]
	s_mov_b64 s[2:3], s[40:41]
	s_cbranch_vccnz .LBB11_1105
; %bb.702:
	s_andn2_b64 vcc, exec, s[4:5]
	s_cbranch_vccnz .LBB11_704
.LBB11_703:
	v_cmp_neq_f64_e32 vcc, 0, v[40:41]
	s_mov_b64 s[6:7], -1
	s_nop 0
	v_cndmask_b32_e64 v4, 0, 1, vcc
	global_store_byte v[2:3], v4, off
.LBB11_704:
.LBB11_705:
	s_andn2_b64 vcc, exec, s[6:7]
	s_cbranch_vccz .LBB11_745
	s_branch .LBB11_1057
.LBB11_706:
	s_mov_b64 s[6:7], 0
	s_mov_b64 s[2:3], s[40:41]
	s_cbranch_execz .LBB11_705
; %bb.707:
	s_and_b32 s4, 0xffff, s10
	s_cmp_lt_i32 s4, 5
	s_mov_b64 s[0:1], -1
	s_cbranch_scc1 .LBB11_728
; %bb.708:
	s_cmp_lt_i32 s4, 8
	s_cbranch_scc1 .LBB11_718
; %bb.709:
	s_cmp_lt_i32 s4, 9
	s_cbranch_scc1 .LBB11_715
; %bb.710:
	s_cmp_gt_i32 s4, 9
	s_cbranch_scc0 .LBB11_712
; %bb.711:
	v_mov_b32_e32 v42, 0
	v_mov_b32_e32 v43, v42
	global_store_dwordx4 v[2:3], v[40:43], off
	s_mov_b64 s[0:1], 0
.LBB11_712:
	s_andn2_b64 vcc, exec, s[0:1]
	s_cbranch_vccnz .LBB11_714
; %bb.713:
	v_cvt_f32_f64_e32 v4, v[40:41]
	v_mov_b32_e32 v5, 0
	global_store_dwordx2 v[2:3], v[4:5], off
.LBB11_714:
	s_mov_b64 s[0:1], 0
.LBB11_715:
	s_andn2_b64 vcc, exec, s[0:1]
	s_cbranch_vccnz .LBB11_717
; %bb.716:
	s_movk_i32 s0, 0x1ff
	v_and_or_b32 v4, v41, s0, v40
	v_cmp_ne_u32_e32 vcc, 0, v4
	v_lshrrev_b32_e32 v5, 8, v41
	s_movk_i32 s0, 0xffe
	v_cndmask_b32_e64 v4, 0, 1, vcc
	v_bfe_u32 v6, v41, 20, 11
	v_and_or_b32 v4, v5, s0, v4
	v_sub_u32_e32 v7, 0x3f1, v6
	v_or_b32_e32 v5, 0x1000, v4
	v_med3_i32 v7, v7, 0, 13
	v_lshrrev_b32_e32 v8, v7, v5
	v_lshlrev_b32_e32 v7, v7, v8
	v_cmp_ne_u32_e32 vcc, v7, v5
	v_add_u32_e32 v6, 0xfffffc10, v6
	v_lshl_or_b32 v7, v6, 12, v4
	v_cndmask_b32_e64 v5, 0, 1, vcc
	v_or_b32_e32 v5, v8, v5
	v_cmp_gt_i32_e32 vcc, 1, v6
	s_movk_i32 s0, 0x40f
	s_nop 0
	v_cndmask_b32_e32 v5, v7, v5, vcc
	v_and_b32_e32 v7, 7, v5
	v_cmp_lt_i32_e32 vcc, 5, v7
	v_lshrrev_b32_e32 v5, 2, v5
	s_nop 0
	v_cndmask_b32_e64 v8, 0, 1, vcc
	v_cmp_eq_u32_e32 vcc, 3, v7
	s_nop 1
	v_cndmask_b32_e64 v7, 0, 1, vcc
	v_or_b32_e32 v7, v7, v8
	v_add_u32_e32 v5, v5, v7
	v_mov_b32_e32 v7, 0x7c00
	v_cmp_gt_i32_e32 vcc, 31, v6
	v_mov_b32_e32 v8, 0x7e00
	s_nop 0
	v_cndmask_b32_e32 v5, v7, v5, vcc
	v_cmp_ne_u32_e32 vcc, 0, v4
	s_nop 1
	v_cndmask_b32_e32 v4, v7, v8, vcc
	v_cmp_eq_u32_e32 vcc, s0, v6
	s_mov_b32 s0, 0x8000
	s_nop 0
	v_cndmask_b32_e32 v4, v5, v4, vcc
	v_and_b32_sdwa v5, v41, s0 dst_sel:DWORD dst_unused:UNUSED_PAD src0_sel:WORD_1 src1_sel:DWORD
	s_mov_b32 s0, 0xffff
	v_bitop3_b32 v4, v5, s0, v4 bitop3:0xc8
	global_store_dword v[2:3], v4, off
.LBB11_717:
	s_mov_b64 s[0:1], 0
.LBB11_718:
	s_andn2_b64 vcc, exec, s[0:1]
	s_cbranch_vccnz .LBB11_727
; %bb.719:
	s_cmp_lt_i32 s4, 6
	s_mov_b64 s[0:1], -1
	s_cbranch_scc1 .LBB11_725
; %bb.720:
	s_cmp_gt_i32 s4, 6
	s_cbranch_scc0 .LBB11_722
; %bb.721:
	global_store_dwordx2 v[2:3], v[40:41], off
	s_mov_b64 s[0:1], 0
.LBB11_722:
	s_andn2_b64 vcc, exec, s[0:1]
	s_cbranch_vccnz .LBB11_724
; %bb.723:
	v_cvt_f32_f64_e32 v4, v[40:41]
	global_store_dword v[2:3], v4, off
.LBB11_724:
	s_mov_b64 s[0:1], 0
.LBB11_725:
	s_andn2_b64 vcc, exec, s[0:1]
	s_cbranch_vccnz .LBB11_727
; %bb.726:
	s_movk_i32 s0, 0x1ff
	v_and_or_b32 v4, v41, s0, v40
	v_cmp_ne_u32_e32 vcc, 0, v4
	v_lshrrev_b32_e32 v5, 8, v41
	s_movk_i32 s0, 0xffe
	v_cndmask_b32_e64 v4, 0, 1, vcc
	v_bfe_u32 v6, v41, 20, 11
	v_and_or_b32 v4, v5, s0, v4
	v_sub_u32_e32 v7, 0x3f1, v6
	v_or_b32_e32 v5, 0x1000, v4
	v_med3_i32 v7, v7, 0, 13
	v_lshrrev_b32_e32 v8, v7, v5
	v_lshlrev_b32_e32 v7, v7, v8
	v_cmp_ne_u32_e32 vcc, v7, v5
	v_add_u32_e32 v6, 0xfffffc10, v6
	v_lshl_or_b32 v7, v6, 12, v4
	v_cndmask_b32_e64 v5, 0, 1, vcc
	v_or_b32_e32 v5, v8, v5
	v_cmp_gt_i32_e32 vcc, 1, v6
	s_movk_i32 s0, 0x40f
	s_nop 0
	v_cndmask_b32_e32 v5, v7, v5, vcc
	v_and_b32_e32 v7, 7, v5
	v_cmp_lt_i32_e32 vcc, 5, v7
	v_lshrrev_b32_e32 v5, 2, v5
	s_nop 0
	v_cndmask_b32_e64 v8, 0, 1, vcc
	v_cmp_eq_u32_e32 vcc, 3, v7
	s_nop 1
	v_cndmask_b32_e64 v7, 0, 1, vcc
	v_or_b32_e32 v7, v7, v8
	v_add_u32_e32 v5, v5, v7
	v_mov_b32_e32 v7, 0x7c00
	v_cmp_gt_i32_e32 vcc, 31, v6
	v_mov_b32_e32 v8, 0x7e00
	s_nop 0
	v_cndmask_b32_e32 v5, v7, v5, vcc
	v_cmp_ne_u32_e32 vcc, 0, v4
	s_nop 1
	v_cndmask_b32_e32 v4, v7, v8, vcc
	v_cmp_eq_u32_e32 vcc, s0, v6
	s_mov_b32 s0, 0x8000
	s_nop 0
	v_cndmask_b32_e32 v4, v5, v4, vcc
	v_lshrrev_b32_e32 v5, 16, v41
	v_and_or_b32 v4, v5, s0, v4
	global_store_short v[2:3], v4, off
.LBB11_727:
	s_mov_b64 s[0:1], 0
.LBB11_728:
	s_andn2_b64 vcc, exec, s[0:1]
	s_cbranch_vccnz .LBB11_744
; %bb.729:
	s_cmp_lt_i32 s4, 2
	s_mov_b64 s[0:1], -1
	s_cbranch_scc1 .LBB11_739
; %bb.730:
	s_cmp_lt_i32 s4, 3
	s_cbranch_scc1 .LBB11_736
; %bb.731:
	s_cmp_gt_i32 s4, 3
	s_cbranch_scc0 .LBB11_733
; %bb.732:
	v_trunc_f64_e32 v[4:5], v[40:41]
	s_movk_i32 s0, 0xffe0
	v_ldexp_f64 v[6:7], v[4:5], s0
	v_floor_f64_e32 v[6:7], v[6:7]
	v_fmac_f64_e32 v[4:5], 0xc1f00000, v[6:7]
	v_cvt_i32_f64_e32 v9, v[6:7]
	v_cvt_u32_f64_e32 v8, v[4:5]
	global_store_dwordx2 v[2:3], v[8:9], off
	s_mov_b64 s[0:1], 0
.LBB11_733:
	s_andn2_b64 vcc, exec, s[0:1]
	s_cbranch_vccnz .LBB11_735
; %bb.734:
	v_cvt_i32_f64_e32 v4, v[40:41]
	global_store_dword v[2:3], v4, off
.LBB11_735:
	s_mov_b64 s[0:1], 0
.LBB11_736:
	s_andn2_b64 vcc, exec, s[0:1]
	s_cbranch_vccnz .LBB11_738
; %bb.737:
	v_cvt_i32_f64_e32 v4, v[40:41]
	global_store_short v[2:3], v4, off
.LBB11_738:
	s_mov_b64 s[0:1], 0
.LBB11_739:
	s_andn2_b64 vcc, exec, s[0:1]
	s_cbranch_vccnz .LBB11_744
; %bb.740:
	s_cmp_gt_i32 s4, 0
	s_mov_b64 s[0:1], -1
	s_cbranch_scc0 .LBB11_742
; %bb.741:
	v_cvt_i32_f64_e32 v4, v[40:41]
	global_store_byte v[2:3], v4, off
	s_mov_b64 s[0:1], 0
.LBB11_742:
	s_andn2_b64 vcc, exec, s[0:1]
	s_cbranch_vccnz .LBB11_744
; %bb.743:
	v_trunc_f64_e32 v[4:5], v[40:41]
	s_movk_i32 s0, 0xffe0
	v_ldexp_f64 v[6:7], v[4:5], s0
	v_floor_f64_e32 v[6:7], v[6:7]
	v_fmac_f64_e32 v[4:5], 0xc1f00000, v[6:7]
	v_cvt_u32_f64_e32 v4, v[4:5]
	global_store_byte v[2:3], v4, off
.LBB11_744:
.LBB11_745:
	s_lshr_b32 s0, s33, 8
	v_mov_b32_e32 v51, 0
	s_and_b32 s12, s0, 0xff
	s_cmp_lt_i32 s12, 11
	v_lshl_add_u64 v[2:3], s[36:37], 0, v[50:51]
	s_cbranch_scc1 .LBB11_824
; %bb.746:
	s_and_b32 s13, 0xffff, s12
	s_mov_b64 s[8:9], -1
	s_mov_b64 s[4:5], 0
	s_cmp_gt_i32 s13, 25
	s_mov_b64 s[6:7], 0
	s_mov_b64 s[0:1], 0
	s_cbranch_scc0 .LBB11_779
; %bb.747:
	s_cmp_gt_i32 s13, 28
	s_cbranch_scc0 .LBB11_762
; %bb.748:
	s_cmp_gt_i32 s13, 43
	;; [unrolled: 3-line block ×3, first 2 shown]
	s_cbranch_scc0 .LBB11_752
; %bb.750:
	s_mov_b64 s[0:1], -1
	s_mov_b64 s[8:9], 0
	s_cmp_eq_u32 s13, 46
	s_cbranch_scc0 .LBB11_752
; %bb.751:
	v_cvt_f32_f64_e32 v4, v[38:39]
	v_bfe_u32 v5, v4, 16, 1
	s_movk_i32 s0, 0x7fff
	v_add3_u32 v5, v4, v5, s0
	v_cmp_o_f32_e32 vcc, v4, v4
	v_mov_b32_e32 v4, 0x7fc0
	s_mov_b64 s[0:1], 0
	v_cndmask_b32_sdwa v4, v4, v5, vcc dst_sel:DWORD dst_unused:UNUSED_PAD src0_sel:DWORD src1_sel:WORD_1
	global_store_dword v[2:3], v4, off
	s_mov_b64 s[6:7], -1
.LBB11_752:
	s_and_b64 vcc, exec, s[8:9]
	s_cbranch_vccz .LBB11_757
; %bb.753:
	s_cmp_eq_u32 s13, 44
	s_mov_b64 s[0:1], -1
	s_cbranch_scc0 .LBB11_757
; %bb.754:
	v_cvt_f32_f64_e32 v4, v[38:39]
	v_bfe_u32 v5, v4, 23, 8
	s_movk_i32 s0, 0xff
	v_cmp_ne_u32_e32 vcc, s0, v5
	v_mov_b32_e32 v6, 0xff
	s_and_saveexec_b64 s[6:7], vcc
; %bb.755:
	s_mov_b32 s0, 0x3fffff
	v_lshrrev_b32_e32 v6, 23, v4
	v_and_b32_e32 v7, 0x400000, v4
	v_and_or_b32 v4, v4, s0, v5
	v_cmp_ne_u32_e32 vcc, 0, v7
	v_cmp_ne_u32_e64 s[0:1], 0, v4
	s_and_b64 s[0:1], vcc, s[0:1]
	s_nop 0
	v_cndmask_b32_e64 v4, 0, 1, s[0:1]
	v_add_u32_e32 v6, v6, v4
; %bb.756:
	s_or_b64 exec, exec, s[6:7]
	s_mov_b64 s[0:1], 0
	s_mov_b64 s[6:7], -1
	global_store_byte v[2:3], v6, off
.LBB11_757:
	s_mov_b64 s[8:9], 0
.LBB11_758:
	s_and_b64 vcc, exec, s[8:9]
	s_cbranch_vccz .LBB11_761
; %bb.759:
	s_cmp_eq_u32 s13, 29
	s_mov_b64 s[0:1], -1
	s_cbranch_scc0 .LBB11_761
; %bb.760:
	v_trunc_f64_e32 v[4:5], v[38:39]
	s_movk_i32 s0, 0xffe0
	v_ldexp_f64 v[6:7], v[4:5], s0
	v_floor_f64_e32 v[6:7], v[6:7]
	v_fmac_f64_e32 v[4:5], 0xc1f00000, v[6:7]
	v_cvt_u32_f64_e32 v9, v[6:7]
	v_cvt_u32_f64_e32 v8, v[4:5]
	global_store_dwordx2 v[2:3], v[8:9], off
	s_mov_b64 s[0:1], 0
	s_mov_b64 s[6:7], -1
.LBB11_761:
	s_mov_b64 s[8:9], 0
.LBB11_762:
	s_and_b64 vcc, exec, s[8:9]
	s_cbranch_vccz .LBB11_778
; %bb.763:
	s_cmp_lt_i32 s13, 27
	s_mov_b64 s[6:7], -1
	s_cbranch_scc1 .LBB11_769
; %bb.764:
	s_cmp_gt_i32 s13, 27
	s_cbranch_scc0 .LBB11_766
; %bb.765:
	v_cvt_u32_f64_e32 v4, v[38:39]
	s_mov_b64 s[6:7], 0
	global_store_dword v[2:3], v4, off
.LBB11_766:
	s_andn2_b64 vcc, exec, s[6:7]
	s_cbranch_vccnz .LBB11_768
; %bb.767:
	v_cvt_u32_f64_e32 v4, v[38:39]
	global_store_short v[2:3], v4, off
.LBB11_768:
	s_mov_b64 s[6:7], 0
.LBB11_769:
	s_andn2_b64 vcc, exec, s[6:7]
	s_cbranch_vccnz .LBB11_777
; %bb.770:
	v_cvt_f32_f64_e32 v4, v[38:39]
	v_and_b32_e32 v5, 0x7fffffff, v4
	s_mov_b32 s6, 0x43800000
	v_cmp_gt_u32_e32 vcc, s6, v5
	v_mov_b32_e32 v6, 0x80
	s_and_saveexec_b64 s[6:7], vcc
	s_cbranch_execz .LBB11_776
; %bb.771:
	s_mov_b32 s8, 0x3bffffff
	v_cmp_lt_u32_e32 vcc, s8, v5
	s_mov_b64 s[8:9], 0
                                        ; implicit-def: $vgpr5
	s_and_saveexec_b64 s[10:11], vcc
	s_xor_b64 s[10:11], exec, s[10:11]
	s_cbranch_execz .LBB11_1108
; %bb.772:
	v_bfe_u32 v5, v4, 20, 1
	s_mov_b32 s14, 0x487ffff
	v_add3_u32 v5, v4, v5, s14
	s_mov_b64 s[8:9], exec
	v_lshrrev_b32_e32 v5, 20, v5
	s_andn2_saveexec_b64 s[10:11], s[10:11]
	s_cbranch_execnz .LBB11_1109
.LBB11_773:
	s_or_b64 exec, exec, s[10:11]
	v_mov_b32_e32 v6, 0
	s_and_saveexec_b64 s[10:11], s[8:9]
.LBB11_774:
	v_lshrrev_b32_e32 v4, 24, v4
	s_movk_i32 s8, 0x80
	v_and_or_b32 v6, v4, s8, v5
.LBB11_775:
	s_or_b64 exec, exec, s[10:11]
.LBB11_776:
	s_or_b64 exec, exec, s[6:7]
	global_store_byte v[2:3], v6, off
.LBB11_777:
	s_mov_b64 s[6:7], -1
.LBB11_778:
	s_mov_b64 s[8:9], 0
.LBB11_779:
	s_and_b64 vcc, exec, s[8:9]
	s_cbranch_vccz .LBB11_819
; %bb.780:
	s_cmp_gt_i32 s13, 22
	s_mov_b64 s[4:5], -1
	s_cbranch_scc0 .LBB11_812
; %bb.781:
	s_cmp_lt_i32 s13, 24
	s_cbranch_scc1 .LBB11_801
; %bb.782:
	s_cmp_gt_i32 s13, 24
	s_cbranch_scc0 .LBB11_790
; %bb.783:
	v_cvt_f32_f64_e32 v4, v[38:39]
	v_and_b32_e32 v5, 0x7fffffff, v4
	s_mov_b32 s4, 0x47800000
	v_cmp_gt_u32_e32 vcc, s4, v5
	v_mov_b32_e32 v6, 0x80
	s_and_saveexec_b64 s[4:5], vcc
	s_cbranch_execz .LBB11_789
; %bb.784:
	s_mov_b32 s6, 0x37ffffff
	v_cmp_lt_u32_e32 vcc, s6, v5
	s_mov_b64 s[6:7], 0
                                        ; implicit-def: $vgpr5
	s_and_saveexec_b64 s[8:9], vcc
	s_xor_b64 s[8:9], exec, s[8:9]
	s_cbranch_execz .LBB11_1111
; %bb.785:
	v_bfe_u32 v5, v4, 21, 1
	s_mov_b32 s10, 0x88fffff
	v_add3_u32 v5, v4, v5, s10
	s_mov_b64 s[6:7], exec
	v_lshrrev_b32_e32 v5, 21, v5
	s_andn2_saveexec_b64 s[8:9], s[8:9]
	s_cbranch_execnz .LBB11_1112
.LBB11_786:
	s_or_b64 exec, exec, s[8:9]
	v_mov_b32_e32 v6, 0
	s_and_saveexec_b64 s[8:9], s[6:7]
.LBB11_787:
	v_lshrrev_b32_e32 v4, 24, v4
	s_movk_i32 s6, 0x80
	v_and_or_b32 v6, v4, s6, v5
.LBB11_788:
	s_or_b64 exec, exec, s[8:9]
.LBB11_789:
	s_or_b64 exec, exec, s[4:5]
	s_mov_b64 s[4:5], 0
	global_store_byte v[2:3], v6, off
.LBB11_790:
	s_and_b64 vcc, exec, s[4:5]
	s_cbranch_vccz .LBB11_800
; %bb.791:
	v_cvt_f32_f64_e32 v4, v[38:39]
	v_and_b32_e32 v6, 0x7fffffff, v4
	s_mov_b32 s4, 0x43f00000
	v_cmp_gt_u32_e32 vcc, s4, v6
                                        ; implicit-def: $vgpr5
	s_and_saveexec_b64 s[4:5], vcc
	s_xor_b64 s[4:5], exec, s[4:5]
	s_cbranch_execz .LBB11_797
; %bb.792:
	s_mov_b32 s6, 0x3c7fffff
	v_cmp_lt_u32_e32 vcc, s6, v6
                                        ; implicit-def: $vgpr5
	s_and_saveexec_b64 s[6:7], vcc
	s_xor_b64 s[6:7], exec, s[6:7]
; %bb.793:
	v_bfe_u32 v5, v4, 20, 1
	s_mov_b32 s8, 0x407ffff
	v_add3_u32 v5, v4, v5, s8
	v_lshrrev_b32_e32 v6, 20, v5
	v_and_b32_e32 v5, 0xff00000, v5
	s_mov_b32 s8, 0x7f00000
	v_mov_b32_e32 v7, 0x7e
	v_cmp_ne_u32_e32 vcc, s8, v5
	s_nop 1
	v_cndmask_b32_e32 v5, v7, v6, vcc
; %bb.794:
	s_andn2_saveexec_b64 s[6:7], s[6:7]
; %bb.795:
	s_mov_b32 s8, 0x46800000
	v_add_f32_e64 v5, |v4|, s8
; %bb.796:
	s_or_b64 exec, exec, s[6:7]
                                        ; implicit-def: $vgpr6
.LBB11_797:
	s_andn2_saveexec_b64 s[4:5], s[4:5]
; %bb.798:
	s_mov_b32 s6, 0x7f800000
	v_mov_b32_e32 v5, 0x7e
	v_mov_b32_e32 v7, 0x7f
	v_cmp_lt_u32_e32 vcc, s6, v6
	s_nop 1
	v_cndmask_b32_e32 v5, v5, v7, vcc
; %bb.799:
	s_or_b64 exec, exec, s[4:5]
	v_lshrrev_b32_e32 v4, 24, v4
	s_movk_i32 s4, 0x80
	v_and_or_b32 v4, v4, s4, v5
	global_store_byte v[2:3], v4, off
.LBB11_800:
	s_mov_b64 s[4:5], 0
.LBB11_801:
	s_andn2_b64 vcc, exec, s[4:5]
	s_cbranch_vccnz .LBB11_811
; %bb.802:
	v_cvt_f32_f64_e32 v4, v[38:39]
	v_and_b32_e32 v6, 0x7fffffff, v4
	s_mov_b32 s4, 0x47800000
	v_cmp_gt_u32_e32 vcc, s4, v6
                                        ; implicit-def: $vgpr5
	s_and_saveexec_b64 s[4:5], vcc
	s_xor_b64 s[4:5], exec, s[4:5]
	s_cbranch_execz .LBB11_808
; %bb.803:
	s_mov_b32 s6, 0x387fffff
	v_cmp_lt_u32_e32 vcc, s6, v6
                                        ; implicit-def: $vgpr5
	s_and_saveexec_b64 s[6:7], vcc
	s_xor_b64 s[6:7], exec, s[6:7]
; %bb.804:
	v_bfe_u32 v5, v4, 21, 1
	s_mov_b32 s8, 0x80fffff
	v_add3_u32 v5, v4, v5, s8
	v_lshrrev_b32_e32 v5, 21, v5
; %bb.805:
	s_andn2_saveexec_b64 s[6:7], s[6:7]
; %bb.806:
	s_mov_b32 s8, 0x43000000
	v_add_f32_e64 v5, |v4|, s8
; %bb.807:
	s_or_b64 exec, exec, s[6:7]
                                        ; implicit-def: $vgpr6
.LBB11_808:
	s_andn2_saveexec_b64 s[4:5], s[4:5]
; %bb.809:
	s_mov_b32 s6, 0x7f800000
	v_mov_b32_e32 v5, 0x7c
	v_mov_b32_e32 v7, 0x7f
	v_cmp_lt_u32_e32 vcc, s6, v6
	s_nop 1
	v_cndmask_b32_e32 v5, v5, v7, vcc
; %bb.810:
	s_or_b64 exec, exec, s[4:5]
	v_lshrrev_b32_e32 v4, 24, v4
	s_movk_i32 s4, 0x80
	v_and_or_b32 v4, v4, s4, v5
	global_store_byte v[2:3], v4, off
.LBB11_811:
	s_mov_b64 s[4:5], 0
	s_mov_b64 s[6:7], -1
.LBB11_812:
	s_andn2_b64 vcc, exec, s[4:5]
	s_mov_b64 s[4:5], 0
	s_cbranch_vccnz .LBB11_819
; %bb.813:
	s_cmp_gt_i32 s13, 14
	s_mov_b64 s[8:9], -1
	s_cbranch_scc0 .LBB11_817
; %bb.814:
	s_cmp_eq_u32 s13, 15
	s_mov_b64 s[0:1], -1
	s_cbranch_scc0 .LBB11_816
; %bb.815:
	v_cvt_f32_f64_e32 v4, v[38:39]
	v_bfe_u32 v5, v4, 16, 1
	s_movk_i32 s0, 0x7fff
	v_add3_u32 v5, v4, v5, s0
	v_cmp_o_f32_e32 vcc, v4, v4
	v_mov_b32_e32 v4, 0x7fc0
	s_mov_b64 s[0:1], 0
	v_cndmask_b32_sdwa v4, v4, v5, vcc dst_sel:DWORD dst_unused:UNUSED_PAD src0_sel:DWORD src1_sel:WORD_1
	global_store_short v[2:3], v4, off
	s_mov_b64 s[6:7], -1
.LBB11_816:
	s_mov_b64 s[8:9], 0
.LBB11_817:
	s_and_b64 vcc, exec, s[8:9]
	s_cbranch_vccz .LBB11_819
; %bb.818:
	s_cmp_lg_u32 s13, 11
	s_mov_b64 s[4:5], -1
	s_cselect_b64 s[0:1], -1, 0
.LBB11_819:
	s_and_b64 vcc, exec, s[0:1]
	s_cbranch_vccnz .LBB11_1110
; %bb.820:
	s_andn2_b64 vcc, exec, s[4:5]
	s_cbranch_vccnz .LBB11_822
.LBB11_821:
	v_cmp_neq_f64_e32 vcc, 0, v[38:39]
	s_mov_b64 s[6:7], -1
	s_nop 0
	v_cndmask_b32_e64 v4, 0, 1, vcc
	global_store_byte v[2:3], v4, off
.LBB11_822:
.LBB11_823:
	s_andn2_b64 vcc, exec, s[6:7]
	s_cbranch_vccz .LBB11_863
	s_branch .LBB11_1057
.LBB11_824:
	s_mov_b64 s[6:7], 0
	s_cbranch_execz .LBB11_823
; %bb.825:
	s_and_b32 s4, 0xffff, s12
	s_cmp_lt_i32 s4, 5
	s_mov_b64 s[0:1], -1
	s_cbranch_scc1 .LBB11_846
; %bb.826:
	s_cmp_lt_i32 s4, 8
	s_cbranch_scc1 .LBB11_836
; %bb.827:
	s_cmp_lt_i32 s4, 9
	s_cbranch_scc1 .LBB11_833
; %bb.828:
	s_cmp_gt_i32 s4, 9
	s_cbranch_scc0 .LBB11_830
; %bb.829:
	v_mov_b32_e32 v40, 0
	v_mov_b32_e32 v41, v40
	global_store_dwordx4 v[2:3], v[38:41], off
	s_mov_b64 s[0:1], 0
.LBB11_830:
	s_andn2_b64 vcc, exec, s[0:1]
	s_cbranch_vccnz .LBB11_832
; %bb.831:
	v_cvt_f32_f64_e32 v4, v[38:39]
	v_mov_b32_e32 v5, 0
	global_store_dwordx2 v[2:3], v[4:5], off
.LBB11_832:
	s_mov_b64 s[0:1], 0
.LBB11_833:
	s_andn2_b64 vcc, exec, s[0:1]
	s_cbranch_vccnz .LBB11_835
; %bb.834:
	s_movk_i32 s0, 0x1ff
	v_and_or_b32 v4, v39, s0, v38
	v_cmp_ne_u32_e32 vcc, 0, v4
	v_lshrrev_b32_e32 v5, 8, v39
	s_movk_i32 s0, 0xffe
	v_cndmask_b32_e64 v4, 0, 1, vcc
	v_bfe_u32 v6, v39, 20, 11
	v_and_or_b32 v4, v5, s0, v4
	v_sub_u32_e32 v7, 0x3f1, v6
	v_or_b32_e32 v5, 0x1000, v4
	v_med3_i32 v7, v7, 0, 13
	v_lshrrev_b32_e32 v8, v7, v5
	v_lshlrev_b32_e32 v7, v7, v8
	v_cmp_ne_u32_e32 vcc, v7, v5
	v_add_u32_e32 v6, 0xfffffc10, v6
	v_lshl_or_b32 v7, v6, 12, v4
	v_cndmask_b32_e64 v5, 0, 1, vcc
	v_or_b32_e32 v5, v8, v5
	v_cmp_gt_i32_e32 vcc, 1, v6
	s_movk_i32 s0, 0x40f
	s_nop 0
	v_cndmask_b32_e32 v5, v7, v5, vcc
	v_and_b32_e32 v7, 7, v5
	v_cmp_lt_i32_e32 vcc, 5, v7
	v_lshrrev_b32_e32 v5, 2, v5
	s_nop 0
	v_cndmask_b32_e64 v8, 0, 1, vcc
	v_cmp_eq_u32_e32 vcc, 3, v7
	s_nop 1
	v_cndmask_b32_e64 v7, 0, 1, vcc
	v_or_b32_e32 v7, v7, v8
	v_add_u32_e32 v5, v5, v7
	v_mov_b32_e32 v7, 0x7c00
	v_cmp_gt_i32_e32 vcc, 31, v6
	v_mov_b32_e32 v8, 0x7e00
	s_nop 0
	v_cndmask_b32_e32 v5, v7, v5, vcc
	v_cmp_ne_u32_e32 vcc, 0, v4
	s_nop 1
	v_cndmask_b32_e32 v4, v7, v8, vcc
	v_cmp_eq_u32_e32 vcc, s0, v6
	s_mov_b32 s0, 0x8000
	s_nop 0
	v_cndmask_b32_e32 v4, v5, v4, vcc
	v_and_b32_sdwa v5, v39, s0 dst_sel:DWORD dst_unused:UNUSED_PAD src0_sel:WORD_1 src1_sel:DWORD
	s_mov_b32 s0, 0xffff
	v_bitop3_b32 v4, v5, s0, v4 bitop3:0xc8
	global_store_dword v[2:3], v4, off
.LBB11_835:
	s_mov_b64 s[0:1], 0
.LBB11_836:
	s_andn2_b64 vcc, exec, s[0:1]
	s_cbranch_vccnz .LBB11_845
; %bb.837:
	s_cmp_lt_i32 s4, 6
	s_mov_b64 s[0:1], -1
	s_cbranch_scc1 .LBB11_843
; %bb.838:
	s_cmp_gt_i32 s4, 6
	s_cbranch_scc0 .LBB11_840
; %bb.839:
	global_store_dwordx2 v[2:3], v[38:39], off
	s_mov_b64 s[0:1], 0
.LBB11_840:
	s_andn2_b64 vcc, exec, s[0:1]
	s_cbranch_vccnz .LBB11_842
; %bb.841:
	v_cvt_f32_f64_e32 v4, v[38:39]
	global_store_dword v[2:3], v4, off
.LBB11_842:
	s_mov_b64 s[0:1], 0
.LBB11_843:
	s_andn2_b64 vcc, exec, s[0:1]
	s_cbranch_vccnz .LBB11_845
; %bb.844:
	s_movk_i32 s0, 0x1ff
	v_and_or_b32 v4, v39, s0, v38
	v_cmp_ne_u32_e32 vcc, 0, v4
	v_lshrrev_b32_e32 v5, 8, v39
	s_movk_i32 s0, 0xffe
	v_cndmask_b32_e64 v4, 0, 1, vcc
	v_bfe_u32 v6, v39, 20, 11
	v_and_or_b32 v4, v5, s0, v4
	v_sub_u32_e32 v7, 0x3f1, v6
	v_or_b32_e32 v5, 0x1000, v4
	v_med3_i32 v7, v7, 0, 13
	v_lshrrev_b32_e32 v8, v7, v5
	v_lshlrev_b32_e32 v7, v7, v8
	v_cmp_ne_u32_e32 vcc, v7, v5
	v_add_u32_e32 v6, 0xfffffc10, v6
	v_lshl_or_b32 v7, v6, 12, v4
	v_cndmask_b32_e64 v5, 0, 1, vcc
	v_or_b32_e32 v5, v8, v5
	v_cmp_gt_i32_e32 vcc, 1, v6
	s_movk_i32 s0, 0x40f
	s_nop 0
	v_cndmask_b32_e32 v5, v7, v5, vcc
	v_and_b32_e32 v7, 7, v5
	v_cmp_lt_i32_e32 vcc, 5, v7
	v_lshrrev_b32_e32 v5, 2, v5
	s_nop 0
	v_cndmask_b32_e64 v8, 0, 1, vcc
	v_cmp_eq_u32_e32 vcc, 3, v7
	s_nop 1
	v_cndmask_b32_e64 v7, 0, 1, vcc
	v_or_b32_e32 v7, v7, v8
	v_add_u32_e32 v5, v5, v7
	v_mov_b32_e32 v7, 0x7c00
	v_cmp_gt_i32_e32 vcc, 31, v6
	v_mov_b32_e32 v8, 0x7e00
	s_nop 0
	v_cndmask_b32_e32 v5, v7, v5, vcc
	v_cmp_ne_u32_e32 vcc, 0, v4
	s_nop 1
	v_cndmask_b32_e32 v4, v7, v8, vcc
	v_cmp_eq_u32_e32 vcc, s0, v6
	s_mov_b32 s0, 0x8000
	s_nop 0
	v_cndmask_b32_e32 v4, v5, v4, vcc
	v_lshrrev_b32_e32 v5, 16, v39
	v_and_or_b32 v4, v5, s0, v4
	global_store_short v[2:3], v4, off
.LBB11_845:
	s_mov_b64 s[0:1], 0
.LBB11_846:
	s_andn2_b64 vcc, exec, s[0:1]
	s_cbranch_vccnz .LBB11_862
; %bb.847:
	s_cmp_lt_i32 s4, 2
	s_mov_b64 s[0:1], -1
	s_cbranch_scc1 .LBB11_857
; %bb.848:
	s_cmp_lt_i32 s4, 3
	s_cbranch_scc1 .LBB11_854
; %bb.849:
	s_cmp_gt_i32 s4, 3
	s_cbranch_scc0 .LBB11_851
; %bb.850:
	v_trunc_f64_e32 v[4:5], v[38:39]
	s_movk_i32 s0, 0xffe0
	v_ldexp_f64 v[6:7], v[4:5], s0
	v_floor_f64_e32 v[6:7], v[6:7]
	v_fmac_f64_e32 v[4:5], 0xc1f00000, v[6:7]
	v_cvt_i32_f64_e32 v9, v[6:7]
	v_cvt_u32_f64_e32 v8, v[4:5]
	global_store_dwordx2 v[2:3], v[8:9], off
	s_mov_b64 s[0:1], 0
.LBB11_851:
	s_andn2_b64 vcc, exec, s[0:1]
	s_cbranch_vccnz .LBB11_853
; %bb.852:
	v_cvt_i32_f64_e32 v4, v[38:39]
	global_store_dword v[2:3], v4, off
.LBB11_853:
	s_mov_b64 s[0:1], 0
.LBB11_854:
	s_andn2_b64 vcc, exec, s[0:1]
	s_cbranch_vccnz .LBB11_856
; %bb.855:
	v_cvt_i32_f64_e32 v4, v[38:39]
	global_store_short v[2:3], v4, off
.LBB11_856:
	s_mov_b64 s[0:1], 0
.LBB11_857:
	s_andn2_b64 vcc, exec, s[0:1]
	s_cbranch_vccnz .LBB11_862
; %bb.858:
	s_cmp_gt_i32 s4, 0
	s_mov_b64 s[0:1], -1
	s_cbranch_scc0 .LBB11_860
; %bb.859:
	v_cvt_i32_f64_e32 v4, v[38:39]
	global_store_byte v[2:3], v4, off
	s_mov_b64 s[0:1], 0
.LBB11_860:
	s_andn2_b64 vcc, exec, s[0:1]
	s_cbranch_vccnz .LBB11_862
; %bb.861:
	v_trunc_f64_e32 v[4:5], v[38:39]
	s_movk_i32 s0, 0xffe0
	v_ldexp_f64 v[6:7], v[4:5], s0
	v_floor_f64_e32 v[6:7], v[6:7]
	v_fmac_f64_e32 v[4:5], 0xc1f00000, v[6:7]
	v_cvt_u32_f64_e32 v4, v[4:5]
	global_store_byte v[2:3], v4, off
.LBB11_862:
.LBB11_863:
	v_mov_b32_e32 v49, 0
	s_cmp_lt_i32 s12, 11
	v_lshl_add_u64 v[2:3], s[36:37], 0, v[48:49]
	s_cbranch_scc1 .LBB11_1018
; %bb.864:
	s_and_b32 s13, 0xffff, s12
	s_mov_b64 s[8:9], -1
	s_mov_b64 s[4:5], 0
	s_cmp_gt_i32 s13, 25
	s_mov_b64 s[6:7], 0
	s_mov_b64 s[0:1], 0
	s_cbranch_scc0 .LBB11_897
; %bb.865:
	s_cmp_gt_i32 s13, 28
	s_cbranch_scc0 .LBB11_880
; %bb.866:
	s_cmp_gt_i32 s13, 43
	s_cbranch_scc0 .LBB11_876
; %bb.867:
	s_cmp_gt_i32 s13, 45
	s_cbranch_scc0 .LBB11_870
; %bb.868:
	s_mov_b64 s[0:1], -1
	s_mov_b64 s[8:9], 0
	s_cmp_eq_u32 s13, 46
	s_cbranch_scc0 .LBB11_870
; %bb.869:
	v_cvt_f32_f64_e32 v4, v[36:37]
	v_bfe_u32 v5, v4, 16, 1
	s_movk_i32 s0, 0x7fff
	v_add3_u32 v5, v4, v5, s0
	v_cmp_o_f32_e32 vcc, v4, v4
	v_mov_b32_e32 v4, 0x7fc0
	s_mov_b64 s[0:1], 0
	v_cndmask_b32_sdwa v4, v4, v5, vcc dst_sel:DWORD dst_unused:UNUSED_PAD src0_sel:DWORD src1_sel:WORD_1
	global_store_dword v[2:3], v4, off
	s_mov_b64 s[6:7], -1
.LBB11_870:
	s_and_b64 vcc, exec, s[8:9]
	s_cbranch_vccz .LBB11_875
; %bb.871:
	s_cmp_eq_u32 s13, 44
	s_mov_b64 s[0:1], -1
	s_cbranch_scc0 .LBB11_875
; %bb.872:
	v_cvt_f32_f64_e32 v4, v[36:37]
	v_bfe_u32 v5, v4, 23, 8
	s_movk_i32 s0, 0xff
	v_cmp_ne_u32_e32 vcc, s0, v5
	v_mov_b32_e32 v6, 0xff
	s_and_saveexec_b64 s[6:7], vcc
; %bb.873:
	s_mov_b32 s0, 0x3fffff
	v_lshrrev_b32_e32 v6, 23, v4
	v_and_b32_e32 v7, 0x400000, v4
	v_and_or_b32 v4, v4, s0, v5
	v_cmp_ne_u32_e32 vcc, 0, v7
	v_cmp_ne_u32_e64 s[0:1], 0, v4
	s_and_b64 s[0:1], vcc, s[0:1]
	s_nop 0
	v_cndmask_b32_e64 v4, 0, 1, s[0:1]
	v_add_u32_e32 v6, v6, v4
; %bb.874:
	s_or_b64 exec, exec, s[6:7]
	s_mov_b64 s[0:1], 0
	s_mov_b64 s[6:7], -1
	global_store_byte v[2:3], v6, off
.LBB11_875:
	s_mov_b64 s[8:9], 0
.LBB11_876:
	s_and_b64 vcc, exec, s[8:9]
	s_cbranch_vccz .LBB11_879
; %bb.877:
	s_cmp_eq_u32 s13, 29
	s_mov_b64 s[0:1], -1
	s_cbranch_scc0 .LBB11_879
; %bb.878:
	v_trunc_f64_e32 v[4:5], v[36:37]
	s_movk_i32 s0, 0xffe0
	v_ldexp_f64 v[6:7], v[4:5], s0
	v_floor_f64_e32 v[6:7], v[6:7]
	v_fmac_f64_e32 v[4:5], 0xc1f00000, v[6:7]
	v_cvt_u32_f64_e32 v9, v[6:7]
	v_cvt_u32_f64_e32 v8, v[4:5]
	global_store_dwordx2 v[2:3], v[8:9], off
	s_mov_b64 s[0:1], 0
	s_mov_b64 s[6:7], -1
.LBB11_879:
	s_mov_b64 s[8:9], 0
.LBB11_880:
	s_and_b64 vcc, exec, s[8:9]
	s_cbranch_vccz .LBB11_896
; %bb.881:
	s_cmp_lt_i32 s13, 27
	s_mov_b64 s[6:7], -1
	s_cbranch_scc1 .LBB11_887
; %bb.882:
	s_cmp_gt_i32 s13, 27
	v_cvt_u32_f64_e32 v4, v[36:37]
	s_cbranch_scc0 .LBB11_884
; %bb.883:
	s_mov_b64 s[6:7], 0
	global_store_dword v[2:3], v4, off
.LBB11_884:
	s_andn2_b64 vcc, exec, s[6:7]
	s_cbranch_vccnz .LBB11_886
; %bb.885:
	global_store_short v[2:3], v4, off
.LBB11_886:
	s_mov_b64 s[6:7], 0
.LBB11_887:
	s_andn2_b64 vcc, exec, s[6:7]
	s_cbranch_vccnz .LBB11_895
; %bb.888:
	v_cvt_f32_f64_e32 v4, v[36:37]
	v_and_b32_e32 v5, 0x7fffffff, v4
	s_mov_b32 s6, 0x43800000
	v_cmp_gt_u32_e32 vcc, s6, v5
	v_mov_b32_e32 v6, 0x80
	s_and_saveexec_b64 s[6:7], vcc
	s_cbranch_execz .LBB11_894
; %bb.889:
	s_mov_b32 s8, 0x3bffffff
	v_cmp_lt_u32_e32 vcc, s8, v5
	s_mov_b64 s[8:9], 0
                                        ; implicit-def: $vgpr5
	s_and_saveexec_b64 s[10:11], vcc
	s_xor_b64 s[10:11], exec, s[10:11]
	s_cbranch_execz .LBB11_1113
; %bb.890:
	v_bfe_u32 v5, v4, 20, 1
	s_mov_b32 s14, 0x487ffff
	v_add3_u32 v5, v4, v5, s14
	s_mov_b64 s[8:9], exec
	v_lshrrev_b32_e32 v5, 20, v5
	s_andn2_saveexec_b64 s[10:11], s[10:11]
	s_cbranch_execnz .LBB11_1114
.LBB11_891:
	s_or_b64 exec, exec, s[10:11]
	v_mov_b32_e32 v6, 0
	s_and_saveexec_b64 s[10:11], s[8:9]
.LBB11_892:
	v_lshrrev_b32_e32 v4, 24, v4
	s_movk_i32 s8, 0x80
	v_and_or_b32 v6, v4, s8, v5
.LBB11_893:
	s_or_b64 exec, exec, s[10:11]
.LBB11_894:
	s_or_b64 exec, exec, s[6:7]
	global_store_byte v[2:3], v6, off
.LBB11_895:
	s_mov_b64 s[6:7], -1
.LBB11_896:
	s_mov_b64 s[8:9], 0
.LBB11_897:
	s_and_b64 vcc, exec, s[8:9]
	s_cbranch_vccz .LBB11_937
; %bb.898:
	s_cmp_gt_i32 s13, 22
	s_mov_b64 s[4:5], -1
	s_cbranch_scc0 .LBB11_930
; %bb.899:
	s_cmp_lt_i32 s13, 24
	s_cbranch_scc1 .LBB11_919
; %bb.900:
	s_cmp_gt_i32 s13, 24
	s_cbranch_scc0 .LBB11_908
; %bb.901:
	v_cvt_f32_f64_e32 v4, v[36:37]
	v_and_b32_e32 v5, 0x7fffffff, v4
	s_mov_b32 s4, 0x47800000
	v_cmp_gt_u32_e32 vcc, s4, v5
	v_mov_b32_e32 v6, 0x80
	s_and_saveexec_b64 s[4:5], vcc
	s_cbranch_execz .LBB11_907
; %bb.902:
	s_mov_b32 s6, 0x37ffffff
	v_cmp_lt_u32_e32 vcc, s6, v5
	s_mov_b64 s[6:7], 0
                                        ; implicit-def: $vgpr5
	s_and_saveexec_b64 s[8:9], vcc
	s_xor_b64 s[8:9], exec, s[8:9]
	s_cbranch_execz .LBB11_1118
; %bb.903:
	v_bfe_u32 v5, v4, 21, 1
	s_mov_b32 s10, 0x88fffff
	v_add3_u32 v5, v4, v5, s10
	s_mov_b64 s[6:7], exec
	v_lshrrev_b32_e32 v5, 21, v5
	s_andn2_saveexec_b64 s[8:9], s[8:9]
	s_cbranch_execnz .LBB11_1119
.LBB11_904:
	s_or_b64 exec, exec, s[8:9]
	v_mov_b32_e32 v6, 0
	s_and_saveexec_b64 s[8:9], s[6:7]
.LBB11_905:
	v_lshrrev_b32_e32 v4, 24, v4
	s_movk_i32 s6, 0x80
	v_and_or_b32 v6, v4, s6, v5
.LBB11_906:
	s_or_b64 exec, exec, s[8:9]
.LBB11_907:
	s_or_b64 exec, exec, s[4:5]
	s_mov_b64 s[4:5], 0
	global_store_byte v[2:3], v6, off
.LBB11_908:
	s_and_b64 vcc, exec, s[4:5]
	s_cbranch_vccz .LBB11_918
; %bb.909:
	v_cvt_f32_f64_e32 v4, v[36:37]
	v_and_b32_e32 v6, 0x7fffffff, v4
	s_mov_b32 s4, 0x43f00000
	v_cmp_gt_u32_e32 vcc, s4, v6
                                        ; implicit-def: $vgpr5
	s_and_saveexec_b64 s[4:5], vcc
	s_xor_b64 s[4:5], exec, s[4:5]
	s_cbranch_execz .LBB11_915
; %bb.910:
	s_mov_b32 s6, 0x3c7fffff
	v_cmp_lt_u32_e32 vcc, s6, v6
                                        ; implicit-def: $vgpr5
	s_and_saveexec_b64 s[6:7], vcc
	s_xor_b64 s[6:7], exec, s[6:7]
; %bb.911:
	v_bfe_u32 v5, v4, 20, 1
	s_mov_b32 s8, 0x407ffff
	v_add3_u32 v5, v4, v5, s8
	v_lshrrev_b32_e32 v6, 20, v5
	v_and_b32_e32 v5, 0xff00000, v5
	s_mov_b32 s8, 0x7f00000
	v_mov_b32_e32 v7, 0x7e
	v_cmp_ne_u32_e32 vcc, s8, v5
	s_nop 1
	v_cndmask_b32_e32 v5, v7, v6, vcc
; %bb.912:
	s_andn2_saveexec_b64 s[6:7], s[6:7]
; %bb.913:
	s_mov_b32 s8, 0x46800000
	v_add_f32_e64 v5, |v4|, s8
; %bb.914:
	s_or_b64 exec, exec, s[6:7]
                                        ; implicit-def: $vgpr6
.LBB11_915:
	s_andn2_saveexec_b64 s[4:5], s[4:5]
; %bb.916:
	s_mov_b32 s6, 0x7f800000
	v_mov_b32_e32 v5, 0x7e
	v_mov_b32_e32 v7, 0x7f
	v_cmp_lt_u32_e32 vcc, s6, v6
	s_nop 1
	v_cndmask_b32_e32 v5, v5, v7, vcc
; %bb.917:
	s_or_b64 exec, exec, s[4:5]
	v_lshrrev_b32_e32 v4, 24, v4
	s_movk_i32 s4, 0x80
	v_and_or_b32 v4, v4, s4, v5
	global_store_byte v[2:3], v4, off
.LBB11_918:
	s_mov_b64 s[4:5], 0
.LBB11_919:
	s_andn2_b64 vcc, exec, s[4:5]
	s_cbranch_vccnz .LBB11_929
; %bb.920:
	v_cvt_f32_f64_e32 v4, v[36:37]
	v_and_b32_e32 v6, 0x7fffffff, v4
	s_mov_b32 s4, 0x47800000
	v_cmp_gt_u32_e32 vcc, s4, v6
                                        ; implicit-def: $vgpr5
	s_and_saveexec_b64 s[4:5], vcc
	s_xor_b64 s[4:5], exec, s[4:5]
	s_cbranch_execz .LBB11_926
; %bb.921:
	s_mov_b32 s6, 0x387fffff
	v_cmp_lt_u32_e32 vcc, s6, v6
                                        ; implicit-def: $vgpr5
	s_and_saveexec_b64 s[6:7], vcc
	s_xor_b64 s[6:7], exec, s[6:7]
; %bb.922:
	v_bfe_u32 v5, v4, 21, 1
	s_mov_b32 s8, 0x80fffff
	v_add3_u32 v5, v4, v5, s8
	v_lshrrev_b32_e32 v5, 21, v5
; %bb.923:
	s_andn2_saveexec_b64 s[6:7], s[6:7]
; %bb.924:
	s_mov_b32 s8, 0x43000000
	v_add_f32_e64 v5, |v4|, s8
; %bb.925:
	s_or_b64 exec, exec, s[6:7]
                                        ; implicit-def: $vgpr6
.LBB11_926:
	s_andn2_saveexec_b64 s[4:5], s[4:5]
; %bb.927:
	s_mov_b32 s6, 0x7f800000
	v_mov_b32_e32 v5, 0x7c
	v_mov_b32_e32 v7, 0x7f
	v_cmp_lt_u32_e32 vcc, s6, v6
	s_nop 1
	v_cndmask_b32_e32 v5, v5, v7, vcc
; %bb.928:
	s_or_b64 exec, exec, s[4:5]
	v_lshrrev_b32_e32 v4, 24, v4
	s_movk_i32 s4, 0x80
	v_and_or_b32 v4, v4, s4, v5
	global_store_byte v[2:3], v4, off
.LBB11_929:
	s_mov_b64 s[4:5], 0
	s_mov_b64 s[6:7], -1
.LBB11_930:
	s_andn2_b64 vcc, exec, s[4:5]
	s_mov_b64 s[4:5], 0
	s_cbranch_vccnz .LBB11_937
; %bb.931:
	s_cmp_gt_i32 s13, 14
	s_mov_b64 s[8:9], -1
	s_cbranch_scc0 .LBB11_935
; %bb.932:
	s_cmp_eq_u32 s13, 15
	s_mov_b64 s[0:1], -1
	s_cbranch_scc0 .LBB11_934
; %bb.933:
	v_cvt_f32_f64_e32 v4, v[36:37]
	v_bfe_u32 v5, v4, 16, 1
	s_movk_i32 s0, 0x7fff
	v_add3_u32 v5, v4, v5, s0
	v_cmp_o_f32_e32 vcc, v4, v4
	v_mov_b32_e32 v4, 0x7fc0
	s_mov_b64 s[0:1], 0
	v_cndmask_b32_sdwa v4, v4, v5, vcc dst_sel:DWORD dst_unused:UNUSED_PAD src0_sel:DWORD src1_sel:WORD_1
	global_store_short v[2:3], v4, off
	s_mov_b64 s[6:7], -1
.LBB11_934:
	s_mov_b64 s[8:9], 0
.LBB11_935:
	s_and_b64 vcc, exec, s[8:9]
	s_cbranch_vccz .LBB11_937
; %bb.936:
	s_cmp_lg_u32 s13, 11
	s_mov_b64 s[4:5], -1
	s_cselect_b64 s[0:1], -1, 0
.LBB11_937:
	s_and_b64 vcc, exec, s[0:1]
	s_cbranch_vccnz .LBB11_1115
; %bb.938:
	s_andn2_b64 vcc, exec, s[4:5]
	s_cbranch_vccnz .LBB11_940
.LBB11_939:
	v_cmp_neq_f64_e32 vcc, 0, v[36:37]
	s_mov_b64 s[6:7], -1
	s_nop 0
	v_cndmask_b32_e64 v4, 0, 1, vcc
	global_store_byte v[2:3], v4, off
.LBB11_940:
.LBB11_941:
	s_andn2_b64 vcc, exec, s[6:7]
	s_cbranch_vccnz .LBB11_1057
.LBB11_942:
	v_mov_b32_e32 v47, 0
	s_cmp_lt_i32 s12, 11
	v_lshl_add_u64 v[4:5], s[36:37], 0, v[46:47]
	s_cbranch_scc1 .LBB11_1102
; %bb.943:
	s_and_b32 s13, 0xffff, s12
	s_mov_b64 s[6:7], -1
	s_mov_b64 s[4:5], 0
	s_cmp_gt_i32 s13, 25
	s_mov_b64 s[0:1], 0
	s_cbranch_scc0 .LBB11_976
; %bb.944:
	s_cmp_gt_i32 s13, 28
	s_cbranch_scc0 .LBB11_960
; %bb.945:
	s_cmp_gt_i32 s13, 43
	;; [unrolled: 3-line block ×3, first 2 shown]
	s_cbranch_scc0 .LBB11_950
; %bb.947:
	s_cmp_eq_u32 s13, 46
	s_mov_b64 s[0:1], -1
	s_cbranch_scc0 .LBB11_949
; %bb.948:
	v_cvt_f32_f64_e32 v2, v[0:1]
	v_bfe_u32 v3, v2, 16, 1
	s_movk_i32 s0, 0x7fff
	v_add3_u32 v3, v2, v3, s0
	v_cmp_o_f32_e32 vcc, v2, v2
	v_mov_b32_e32 v2, 0x7fc0
	s_mov_b64 s[0:1], 0
	v_cndmask_b32_sdwa v2, v2, v3, vcc dst_sel:DWORD dst_unused:UNUSED_PAD src0_sel:DWORD src1_sel:WORD_1
	global_store_dword v[4:5], v2, off
.LBB11_949:
	s_mov_b64 s[6:7], 0
.LBB11_950:
	s_and_b64 vcc, exec, s[6:7]
	s_cbranch_vccz .LBB11_955
; %bb.951:
	s_cmp_eq_u32 s13, 44
	s_mov_b64 s[0:1], -1
	s_cbranch_scc0 .LBB11_955
; %bb.952:
	v_cvt_f32_f64_e32 v2, v[0:1]
	v_bfe_u32 v3, v2, 23, 8
	s_movk_i32 s0, 0xff
	v_cmp_ne_u32_e32 vcc, s0, v3
	v_mov_b32_e32 v6, 0xff
	s_and_saveexec_b64 s[6:7], vcc
; %bb.953:
	s_mov_b32 s0, 0x3fffff
	v_lshrrev_b32_e32 v6, 23, v2
	v_and_b32_e32 v7, 0x400000, v2
	v_and_or_b32 v2, v2, s0, v3
	v_cmp_ne_u32_e32 vcc, 0, v7
	v_cmp_ne_u32_e64 s[0:1], 0, v2
	s_and_b64 s[0:1], vcc, s[0:1]
	s_nop 0
	v_cndmask_b32_e64 v2, 0, 1, s[0:1]
	v_add_u32_e32 v6, v6, v2
; %bb.954:
	s_or_b64 exec, exec, s[6:7]
	s_mov_b64 s[0:1], 0
	global_store_byte v[4:5], v6, off
.LBB11_955:
	s_mov_b64 s[6:7], 0
.LBB11_956:
	s_and_b64 vcc, exec, s[6:7]
	s_cbranch_vccz .LBB11_959
; %bb.957:
	s_cmp_eq_u32 s13, 29
	s_mov_b64 s[0:1], -1
	s_cbranch_scc0 .LBB11_959
; %bb.958:
	v_trunc_f64_e32 v[2:3], v[0:1]
	s_movk_i32 s0, 0xffe0
	v_ldexp_f64 v[6:7], v[2:3], s0
	v_floor_f64_e32 v[6:7], v[6:7]
	v_fmac_f64_e32 v[2:3], 0xc1f00000, v[6:7]
	v_cvt_u32_f64_e32 v9, v[6:7]
	v_cvt_u32_f64_e32 v8, v[2:3]
	global_store_dwordx2 v[4:5], v[8:9], off
	s_mov_b64 s[0:1], 0
.LBB11_959:
	s_mov_b64 s[6:7], 0
.LBB11_960:
	s_and_b64 vcc, exec, s[6:7]
	s_cbranch_vccz .LBB11_975
; %bb.961:
	s_cmp_lt_i32 s13, 27
	s_mov_b64 s[6:7], -1
	s_cbranch_scc1 .LBB11_967
; %bb.962:
	s_cmp_gt_i32 s13, 27
	v_cvt_u32_f64_e32 v2, v[0:1]
	s_cbranch_scc0 .LBB11_964
; %bb.963:
	global_store_dword v[4:5], v2, off
	s_mov_b64 s[6:7], 0
.LBB11_964:
	s_andn2_b64 vcc, exec, s[6:7]
	s_cbranch_vccnz .LBB11_966
; %bb.965:
	global_store_short v[4:5], v2, off
.LBB11_966:
	s_mov_b64 s[6:7], 0
.LBB11_967:
	s_andn2_b64 vcc, exec, s[6:7]
	s_cbranch_vccnz .LBB11_975
; %bb.968:
	v_cvt_f32_f64_e32 v2, v[0:1]
	v_and_b32_e32 v3, 0x7fffffff, v2
	s_mov_b32 s6, 0x43800000
	v_cmp_gt_u32_e32 vcc, s6, v3
	v_mov_b32_e32 v6, 0x80
	s_and_saveexec_b64 s[6:7], vcc
	s_cbranch_execz .LBB11_974
; %bb.969:
	s_mov_b32 s8, 0x3bffffff
	v_cmp_lt_u32_e32 vcc, s8, v3
	s_mov_b64 s[8:9], 0
                                        ; implicit-def: $vgpr3
	s_and_saveexec_b64 s[10:11], vcc
	s_xor_b64 s[10:11], exec, s[10:11]
	s_cbranch_execz .LBB11_1120
; %bb.970:
	v_bfe_u32 v3, v2, 20, 1
	s_mov_b32 s14, 0x487ffff
	v_add3_u32 v3, v2, v3, s14
	s_mov_b64 s[8:9], exec
	v_lshrrev_b32_e32 v3, 20, v3
	s_andn2_saveexec_b64 s[10:11], s[10:11]
	s_cbranch_execnz .LBB11_1121
.LBB11_971:
	s_or_b64 exec, exec, s[10:11]
	v_mov_b32_e32 v6, 0
	s_and_saveexec_b64 s[10:11], s[8:9]
.LBB11_972:
	v_lshrrev_b32_e32 v2, 24, v2
	s_movk_i32 s8, 0x80
	v_and_or_b32 v6, v2, s8, v3
.LBB11_973:
	s_or_b64 exec, exec, s[10:11]
.LBB11_974:
	s_or_b64 exec, exec, s[6:7]
	global_store_byte v[4:5], v6, off
.LBB11_975:
	s_mov_b64 s[6:7], 0
.LBB11_976:
	s_and_b64 vcc, exec, s[6:7]
	s_cbranch_vccz .LBB11_1016
; %bb.977:
	s_cmp_gt_i32 s13, 22
	s_mov_b64 s[4:5], -1
	s_cbranch_scc0 .LBB11_1009
; %bb.978:
	s_cmp_lt_i32 s13, 24
	s_cbranch_scc1 .LBB11_998
; %bb.979:
	s_cmp_gt_i32 s13, 24
	s_cbranch_scc0 .LBB11_987
; %bb.980:
	v_cvt_f32_f64_e32 v2, v[0:1]
	v_and_b32_e32 v3, 0x7fffffff, v2
	s_mov_b32 s4, 0x47800000
	v_cmp_gt_u32_e32 vcc, s4, v3
	v_mov_b32_e32 v6, 0x80
	s_and_saveexec_b64 s[4:5], vcc
	s_cbranch_execz .LBB11_986
; %bb.981:
	s_mov_b32 s6, 0x37ffffff
	v_cmp_lt_u32_e32 vcc, s6, v3
	s_mov_b64 s[6:7], 0
                                        ; implicit-def: $vgpr3
	s_and_saveexec_b64 s[8:9], vcc
	s_xor_b64 s[8:9], exec, s[8:9]
	s_cbranch_execz .LBB11_1127
; %bb.982:
	v_bfe_u32 v3, v2, 21, 1
	s_mov_b32 s10, 0x88fffff
	v_add3_u32 v3, v2, v3, s10
	s_mov_b64 s[6:7], exec
	v_lshrrev_b32_e32 v3, 21, v3
	s_andn2_saveexec_b64 s[8:9], s[8:9]
	s_cbranch_execnz .LBB11_1128
.LBB11_983:
	s_or_b64 exec, exec, s[8:9]
	v_mov_b32_e32 v6, 0
	s_and_saveexec_b64 s[8:9], s[6:7]
.LBB11_984:
	v_lshrrev_b32_e32 v2, 24, v2
	s_movk_i32 s6, 0x80
	v_and_or_b32 v6, v2, s6, v3
.LBB11_985:
	s_or_b64 exec, exec, s[8:9]
.LBB11_986:
	s_or_b64 exec, exec, s[4:5]
	s_mov_b64 s[4:5], 0
	global_store_byte v[4:5], v6, off
.LBB11_987:
	s_and_b64 vcc, exec, s[4:5]
	s_cbranch_vccz .LBB11_997
; %bb.988:
	v_cvt_f32_f64_e32 v2, v[0:1]
	v_and_b32_e32 v6, 0x7fffffff, v2
	s_mov_b32 s4, 0x43f00000
	v_cmp_gt_u32_e32 vcc, s4, v6
                                        ; implicit-def: $vgpr3
	s_and_saveexec_b64 s[4:5], vcc
	s_xor_b64 s[4:5], exec, s[4:5]
	s_cbranch_execz .LBB11_994
; %bb.989:
	s_mov_b32 s6, 0x3c7fffff
	v_cmp_lt_u32_e32 vcc, s6, v6
                                        ; implicit-def: $vgpr3
	s_and_saveexec_b64 s[6:7], vcc
	s_xor_b64 s[6:7], exec, s[6:7]
; %bb.990:
	v_bfe_u32 v3, v2, 20, 1
	s_mov_b32 s8, 0x407ffff
	v_add3_u32 v3, v2, v3, s8
	v_lshrrev_b32_e32 v6, 20, v3
	v_and_b32_e32 v3, 0xff00000, v3
	s_mov_b32 s8, 0x7f00000
	v_mov_b32_e32 v7, 0x7e
	v_cmp_ne_u32_e32 vcc, s8, v3
	s_nop 1
	v_cndmask_b32_e32 v3, v7, v6, vcc
; %bb.991:
	s_andn2_saveexec_b64 s[6:7], s[6:7]
; %bb.992:
	s_mov_b32 s8, 0x46800000
	v_add_f32_e64 v3, |v2|, s8
; %bb.993:
	s_or_b64 exec, exec, s[6:7]
                                        ; implicit-def: $vgpr6
.LBB11_994:
	s_andn2_saveexec_b64 s[4:5], s[4:5]
; %bb.995:
	s_mov_b32 s6, 0x7f800000
	v_mov_b32_e32 v3, 0x7e
	v_mov_b32_e32 v7, 0x7f
	v_cmp_lt_u32_e32 vcc, s6, v6
	s_nop 1
	v_cndmask_b32_e32 v3, v3, v7, vcc
; %bb.996:
	s_or_b64 exec, exec, s[4:5]
	v_lshrrev_b32_e32 v2, 24, v2
	s_movk_i32 s4, 0x80
	v_and_or_b32 v2, v2, s4, v3
	global_store_byte v[4:5], v2, off
.LBB11_997:
	s_mov_b64 s[4:5], 0
.LBB11_998:
	s_andn2_b64 vcc, exec, s[4:5]
	s_cbranch_vccnz .LBB11_1008
; %bb.999:
	v_cvt_f32_f64_e32 v2, v[0:1]
	v_and_b32_e32 v6, 0x7fffffff, v2
	s_mov_b32 s4, 0x47800000
	v_cmp_gt_u32_e32 vcc, s4, v6
                                        ; implicit-def: $vgpr3
	s_and_saveexec_b64 s[4:5], vcc
	s_xor_b64 s[4:5], exec, s[4:5]
	s_cbranch_execz .LBB11_1005
; %bb.1000:
	s_mov_b32 s6, 0x387fffff
	v_cmp_lt_u32_e32 vcc, s6, v6
                                        ; implicit-def: $vgpr3
	s_and_saveexec_b64 s[6:7], vcc
	s_xor_b64 s[6:7], exec, s[6:7]
; %bb.1001:
	v_bfe_u32 v3, v2, 21, 1
	s_mov_b32 s8, 0x80fffff
	v_add3_u32 v3, v2, v3, s8
	v_lshrrev_b32_e32 v3, 21, v3
; %bb.1002:
	s_andn2_saveexec_b64 s[6:7], s[6:7]
; %bb.1003:
	s_mov_b32 s8, 0x43000000
	v_add_f32_e64 v3, |v2|, s8
; %bb.1004:
	s_or_b64 exec, exec, s[6:7]
                                        ; implicit-def: $vgpr6
.LBB11_1005:
	s_andn2_saveexec_b64 s[4:5], s[4:5]
; %bb.1006:
	s_mov_b32 s6, 0x7f800000
	v_mov_b32_e32 v3, 0x7c
	v_mov_b32_e32 v7, 0x7f
	v_cmp_lt_u32_e32 vcc, s6, v6
	s_nop 1
	v_cndmask_b32_e32 v3, v3, v7, vcc
; %bb.1007:
	s_or_b64 exec, exec, s[4:5]
	v_lshrrev_b32_e32 v2, 24, v2
	s_movk_i32 s4, 0x80
	v_and_or_b32 v2, v2, s4, v3
	global_store_byte v[4:5], v2, off
.LBB11_1008:
	s_mov_b64 s[4:5], 0
.LBB11_1009:
	s_andn2_b64 vcc, exec, s[4:5]
	s_mov_b64 s[4:5], 0
	s_cbranch_vccnz .LBB11_1016
; %bb.1010:
	s_cmp_gt_i32 s13, 14
	s_mov_b64 s[6:7], -1
	s_cbranch_scc0 .LBB11_1014
; %bb.1011:
	s_cmp_eq_u32 s13, 15
	s_mov_b64 s[0:1], -1
	s_cbranch_scc0 .LBB11_1013
; %bb.1012:
	v_cvt_f32_f64_e32 v2, v[0:1]
	v_bfe_u32 v3, v2, 16, 1
	s_movk_i32 s0, 0x7fff
	v_add3_u32 v3, v2, v3, s0
	v_cmp_o_f32_e32 vcc, v2, v2
	v_mov_b32_e32 v2, 0x7fc0
	s_mov_b64 s[0:1], 0
	v_cndmask_b32_sdwa v2, v2, v3, vcc dst_sel:DWORD dst_unused:UNUSED_PAD src0_sel:DWORD src1_sel:WORD_1
	global_store_short v[4:5], v2, off
.LBB11_1013:
	s_mov_b64 s[6:7], 0
.LBB11_1014:
	s_and_b64 vcc, exec, s[6:7]
	s_cbranch_vccz .LBB11_1016
; %bb.1015:
	s_cmp_lg_u32 s13, 11
	s_mov_b64 s[4:5], -1
	s_cselect_b64 s[0:1], -1, 0
.LBB11_1016:
	s_and_b64 vcc, exec, s[0:1]
	s_cbranch_vccnz .LBB11_1122
.LBB11_1017:
	s_mov_b64 s[0:1], 0
	s_branch .LBB11_1058
.LBB11_1018:
	s_mov_b64 s[6:7], 0
	s_cbranch_execz .LBB11_941
; %bb.1019:
	s_and_b32 s4, 0xffff, s12
	s_cmp_lt_i32 s4, 5
	s_mov_b64 s[0:1], -1
	s_cbranch_scc1 .LBB11_1040
; %bb.1020:
	s_cmp_lt_i32 s4, 8
	s_cbranch_scc1 .LBB11_1030
; %bb.1021:
	s_cmp_lt_i32 s4, 9
	s_cbranch_scc1 .LBB11_1027
; %bb.1022:
	s_cmp_gt_i32 s4, 9
	s_cbranch_scc0 .LBB11_1024
; %bb.1023:
	v_mov_b32_e32 v38, 0
	v_mov_b32_e32 v39, v38
	global_store_dwordx4 v[2:3], v[36:39], off
	s_mov_b64 s[0:1], 0
.LBB11_1024:
	s_andn2_b64 vcc, exec, s[0:1]
	s_cbranch_vccnz .LBB11_1026
; %bb.1025:
	v_cvt_f32_f64_e32 v4, v[36:37]
	v_mov_b32_e32 v5, 0
	global_store_dwordx2 v[2:3], v[4:5], off
.LBB11_1026:
	s_mov_b64 s[0:1], 0
.LBB11_1027:
	s_andn2_b64 vcc, exec, s[0:1]
	s_cbranch_vccnz .LBB11_1029
; %bb.1028:
	s_movk_i32 s0, 0x1ff
	v_and_or_b32 v4, v37, s0, v36
	v_cmp_ne_u32_e32 vcc, 0, v4
	v_lshrrev_b32_e32 v5, 8, v37
	s_movk_i32 s0, 0xffe
	v_cndmask_b32_e64 v4, 0, 1, vcc
	v_bfe_u32 v6, v37, 20, 11
	v_and_or_b32 v4, v5, s0, v4
	v_sub_u32_e32 v7, 0x3f1, v6
	v_or_b32_e32 v5, 0x1000, v4
	v_med3_i32 v7, v7, 0, 13
	v_lshrrev_b32_e32 v8, v7, v5
	v_lshlrev_b32_e32 v7, v7, v8
	v_cmp_ne_u32_e32 vcc, v7, v5
	v_add_u32_e32 v6, 0xfffffc10, v6
	v_lshl_or_b32 v7, v6, 12, v4
	v_cndmask_b32_e64 v5, 0, 1, vcc
	v_or_b32_e32 v5, v8, v5
	v_cmp_gt_i32_e32 vcc, 1, v6
	s_movk_i32 s0, 0x40f
	s_nop 0
	v_cndmask_b32_e32 v5, v7, v5, vcc
	v_and_b32_e32 v7, 7, v5
	v_cmp_lt_i32_e32 vcc, 5, v7
	v_lshrrev_b32_e32 v5, 2, v5
	s_nop 0
	v_cndmask_b32_e64 v8, 0, 1, vcc
	v_cmp_eq_u32_e32 vcc, 3, v7
	s_nop 1
	v_cndmask_b32_e64 v7, 0, 1, vcc
	v_or_b32_e32 v7, v7, v8
	v_add_u32_e32 v5, v5, v7
	v_mov_b32_e32 v7, 0x7c00
	v_cmp_gt_i32_e32 vcc, 31, v6
	v_mov_b32_e32 v8, 0x7e00
	s_nop 0
	v_cndmask_b32_e32 v5, v7, v5, vcc
	v_cmp_ne_u32_e32 vcc, 0, v4
	s_nop 1
	v_cndmask_b32_e32 v4, v7, v8, vcc
	v_cmp_eq_u32_e32 vcc, s0, v6
	s_mov_b32 s0, 0x8000
	s_nop 0
	v_cndmask_b32_e32 v4, v5, v4, vcc
	v_and_b32_sdwa v5, v37, s0 dst_sel:DWORD dst_unused:UNUSED_PAD src0_sel:WORD_1 src1_sel:DWORD
	s_mov_b32 s0, 0xffff
	v_bitop3_b32 v4, v5, s0, v4 bitop3:0xc8
	global_store_dword v[2:3], v4, off
.LBB11_1029:
	s_mov_b64 s[0:1], 0
.LBB11_1030:
	s_andn2_b64 vcc, exec, s[0:1]
	s_cbranch_vccnz .LBB11_1039
; %bb.1031:
	s_cmp_lt_i32 s4, 6
	s_mov_b64 s[0:1], -1
	s_cbranch_scc1 .LBB11_1037
; %bb.1032:
	s_cmp_gt_i32 s4, 6
	s_cbranch_scc0 .LBB11_1034
; %bb.1033:
	global_store_dwordx2 v[2:3], v[36:37], off
	s_mov_b64 s[0:1], 0
.LBB11_1034:
	s_andn2_b64 vcc, exec, s[0:1]
	s_cbranch_vccnz .LBB11_1036
; %bb.1035:
	v_cvt_f32_f64_e32 v4, v[36:37]
	global_store_dword v[2:3], v4, off
.LBB11_1036:
	s_mov_b64 s[0:1], 0
.LBB11_1037:
	s_andn2_b64 vcc, exec, s[0:1]
	s_cbranch_vccnz .LBB11_1039
; %bb.1038:
	s_movk_i32 s0, 0x1ff
	v_and_or_b32 v4, v37, s0, v36
	v_cmp_ne_u32_e32 vcc, 0, v4
	v_lshrrev_b32_e32 v5, 8, v37
	s_movk_i32 s0, 0xffe
	v_cndmask_b32_e64 v4, 0, 1, vcc
	v_bfe_u32 v6, v37, 20, 11
	v_and_or_b32 v4, v5, s0, v4
	v_sub_u32_e32 v7, 0x3f1, v6
	v_or_b32_e32 v5, 0x1000, v4
	v_med3_i32 v7, v7, 0, 13
	v_lshrrev_b32_e32 v8, v7, v5
	v_lshlrev_b32_e32 v7, v7, v8
	v_cmp_ne_u32_e32 vcc, v7, v5
	v_add_u32_e32 v6, 0xfffffc10, v6
	v_lshl_or_b32 v7, v6, 12, v4
	v_cndmask_b32_e64 v5, 0, 1, vcc
	v_or_b32_e32 v5, v8, v5
	v_cmp_gt_i32_e32 vcc, 1, v6
	s_movk_i32 s0, 0x40f
	s_nop 0
	v_cndmask_b32_e32 v5, v7, v5, vcc
	v_and_b32_e32 v7, 7, v5
	v_cmp_lt_i32_e32 vcc, 5, v7
	v_lshrrev_b32_e32 v5, 2, v5
	s_nop 0
	v_cndmask_b32_e64 v8, 0, 1, vcc
	v_cmp_eq_u32_e32 vcc, 3, v7
	s_nop 1
	v_cndmask_b32_e64 v7, 0, 1, vcc
	v_or_b32_e32 v7, v7, v8
	v_add_u32_e32 v5, v5, v7
	v_mov_b32_e32 v7, 0x7c00
	v_cmp_gt_i32_e32 vcc, 31, v6
	v_mov_b32_e32 v8, 0x7e00
	s_nop 0
	v_cndmask_b32_e32 v5, v7, v5, vcc
	v_cmp_ne_u32_e32 vcc, 0, v4
	s_nop 1
	v_cndmask_b32_e32 v4, v7, v8, vcc
	v_cmp_eq_u32_e32 vcc, s0, v6
	s_mov_b32 s0, 0x8000
	s_nop 0
	v_cndmask_b32_e32 v4, v5, v4, vcc
	v_lshrrev_b32_e32 v5, 16, v37
	v_and_or_b32 v4, v5, s0, v4
	global_store_short v[2:3], v4, off
.LBB11_1039:
	s_mov_b64 s[0:1], 0
.LBB11_1040:
	s_andn2_b64 vcc, exec, s[0:1]
	s_cbranch_vccnz .LBB11_1056
; %bb.1041:
	s_cmp_lt_i32 s4, 2
	s_mov_b64 s[0:1], -1
	s_cbranch_scc1 .LBB11_1051
; %bb.1042:
	s_cmp_lt_i32 s4, 3
	s_cbranch_scc1 .LBB11_1048
; %bb.1043:
	s_cmp_gt_i32 s4, 3
	s_cbranch_scc0 .LBB11_1045
; %bb.1044:
	v_trunc_f64_e32 v[4:5], v[36:37]
	s_movk_i32 s0, 0xffe0
	v_ldexp_f64 v[6:7], v[4:5], s0
	v_floor_f64_e32 v[6:7], v[6:7]
	v_fmac_f64_e32 v[4:5], 0xc1f00000, v[6:7]
	v_cvt_i32_f64_e32 v9, v[6:7]
	v_cvt_u32_f64_e32 v8, v[4:5]
	global_store_dwordx2 v[2:3], v[8:9], off
	s_mov_b64 s[0:1], 0
.LBB11_1045:
	s_andn2_b64 vcc, exec, s[0:1]
	s_cbranch_vccnz .LBB11_1047
; %bb.1046:
	v_cvt_i32_f64_e32 v4, v[36:37]
	global_store_dword v[2:3], v4, off
.LBB11_1047:
	s_mov_b64 s[0:1], 0
.LBB11_1048:
	s_andn2_b64 vcc, exec, s[0:1]
	s_cbranch_vccnz .LBB11_1050
; %bb.1049:
	v_cvt_i32_f64_e32 v4, v[36:37]
	global_store_short v[2:3], v4, off
.LBB11_1050:
	s_mov_b64 s[0:1], 0
.LBB11_1051:
	s_andn2_b64 vcc, exec, s[0:1]
	s_cbranch_vccnz .LBB11_1056
; %bb.1052:
	s_cmp_gt_i32 s4, 0
	s_mov_b64 s[0:1], -1
	s_cbranch_scc0 .LBB11_1054
; %bb.1053:
	v_cvt_i32_f64_e32 v4, v[36:37]
	global_store_byte v[2:3], v4, off
	s_mov_b64 s[0:1], 0
.LBB11_1054:
	s_andn2_b64 vcc, exec, s[0:1]
	s_cbranch_vccnz .LBB11_1056
; %bb.1055:
	v_trunc_f64_e32 v[4:5], v[36:37]
	s_movk_i32 s0, 0xffe0
	v_ldexp_f64 v[6:7], v[4:5], s0
	v_floor_f64_e32 v[6:7], v[6:7]
	v_fmac_f64_e32 v[4:5], 0xc1f00000, v[6:7]
	v_cvt_u32_f64_e32 v4, v[4:5]
	global_store_byte v[2:3], v4, off
.LBB11_1056:
	s_branch .LBB11_942
.LBB11_1057:
	s_mov_b64 s[0:1], 0
	s_mov_b64 s[4:5], 0
                                        ; implicit-def: $sgpr12
                                        ; implicit-def: $vgpr4_vgpr5
.LBB11_1058:
	s_and_b64 s[48:49], s[4:5], exec
	s_andn2_b64 s[4:5], s[40:41], exec
	s_and_b64 s[2:3], s[2:3], exec
	s_and_b64 s[0:1], s[0:1], exec
	s_or_b64 s[40:41], s[4:5], s[2:3]
.LBB11_1059:
	s_or_b64 exec, exec, s[42:43]
	s_and_saveexec_b64 s[2:3], s[40:41]
	s_cbranch_execz .LBB11_1062
; %bb.1060:
	; divergent unreachable
	s_or_b64 exec, exec, s[2:3]
	s_and_saveexec_b64 s[2:3], s[48:49]
	s_xor_b64 s[2:3], exec, s[2:3]
	s_cbranch_execnz .LBB11_1063
.LBB11_1061:
	s_or_b64 exec, exec, s[2:3]
	s_and_saveexec_b64 s[2:3], s[0:1]
	s_cbranch_execnz .LBB11_1064
	s_branch .LBB11_1101
.LBB11_1062:
	s_or_b64 exec, exec, s[2:3]
	s_and_saveexec_b64 s[2:3], s[48:49]
	s_xor_b64 s[2:3], exec, s[2:3]
	s_cbranch_execz .LBB11_1061
.LBB11_1063:
	v_cmp_neq_f64_e32 vcc, 0, v[0:1]
	s_nop 1
	v_cndmask_b32_e64 v2, 0, 1, vcc
	global_store_byte v[4:5], v2, off
	s_or_b64 exec, exec, s[2:3]
	s_and_saveexec_b64 s[2:3], s[0:1]
	s_cbranch_execz .LBB11_1101
.LBB11_1064:
	s_sext_i32_i16 s2, s12
	s_cmp_lt_i32 s2, 5
	s_mov_b64 s[0:1], -1
	s_cbranch_scc1 .LBB11_1085
; %bb.1065:
	s_cmp_lt_i32 s2, 8
	s_cbranch_scc1 .LBB11_1075
; %bb.1066:
	s_cmp_lt_i32 s2, 9
	s_cbranch_scc1 .LBB11_1072
; %bb.1067:
	s_cmp_gt_i32 s2, 9
	s_cbranch_scc0 .LBB11_1069
; %bb.1068:
	v_mov_b32_e32 v2, 0
	v_mov_b32_e32 v3, v2
	global_store_dwordx4 v[4:5], v[0:3], off
	s_mov_b64 s[0:1], 0
.LBB11_1069:
	s_andn2_b64 vcc, exec, s[0:1]
	s_cbranch_vccnz .LBB11_1071
; %bb.1070:
	v_cvt_f32_f64_e32 v2, v[0:1]
	v_mov_b32_e32 v3, 0
	global_store_dwordx2 v[4:5], v[2:3], off
.LBB11_1071:
	s_mov_b64 s[0:1], 0
.LBB11_1072:
	s_andn2_b64 vcc, exec, s[0:1]
	s_cbranch_vccnz .LBB11_1074
; %bb.1073:
	s_movk_i32 s0, 0x1ff
	v_and_or_b32 v2, v1, s0, v0
	v_cmp_ne_u32_e32 vcc, 0, v2
	v_lshrrev_b32_e32 v3, 8, v1
	s_movk_i32 s0, 0xffe
	v_cndmask_b32_e64 v2, 0, 1, vcc
	v_bfe_u32 v6, v1, 20, 11
	v_and_or_b32 v2, v3, s0, v2
	v_sub_u32_e32 v7, 0x3f1, v6
	v_or_b32_e32 v3, 0x1000, v2
	v_med3_i32 v7, v7, 0, 13
	v_lshrrev_b32_e32 v8, v7, v3
	v_lshlrev_b32_e32 v7, v7, v8
	v_cmp_ne_u32_e32 vcc, v7, v3
	v_add_u32_e32 v6, 0xfffffc10, v6
	v_lshl_or_b32 v7, v6, 12, v2
	v_cndmask_b32_e64 v3, 0, 1, vcc
	v_or_b32_e32 v3, v8, v3
	v_cmp_gt_i32_e32 vcc, 1, v6
	s_movk_i32 s0, 0x40f
	s_nop 0
	v_cndmask_b32_e32 v3, v7, v3, vcc
	v_and_b32_e32 v7, 7, v3
	v_cmp_lt_i32_e32 vcc, 5, v7
	v_lshrrev_b32_e32 v3, 2, v3
	s_nop 0
	v_cndmask_b32_e64 v8, 0, 1, vcc
	v_cmp_eq_u32_e32 vcc, 3, v7
	s_nop 1
	v_cndmask_b32_e64 v7, 0, 1, vcc
	v_or_b32_e32 v7, v7, v8
	v_add_u32_e32 v3, v3, v7
	v_mov_b32_e32 v7, 0x7c00
	v_cmp_gt_i32_e32 vcc, 31, v6
	v_mov_b32_e32 v8, 0x7e00
	s_nop 0
	v_cndmask_b32_e32 v3, v7, v3, vcc
	v_cmp_ne_u32_e32 vcc, 0, v2
	s_nop 1
	v_cndmask_b32_e32 v2, v7, v8, vcc
	v_cmp_eq_u32_e32 vcc, s0, v6
	s_mov_b32 s0, 0x8000
	s_nop 0
	v_cndmask_b32_e32 v2, v3, v2, vcc
	v_and_b32_sdwa v3, v1, s0 dst_sel:DWORD dst_unused:UNUSED_PAD src0_sel:WORD_1 src1_sel:DWORD
	s_mov_b32 s0, 0xffff
	v_bitop3_b32 v2, v3, s0, v2 bitop3:0xc8
	global_store_dword v[4:5], v2, off
.LBB11_1074:
	s_mov_b64 s[0:1], 0
.LBB11_1075:
	s_andn2_b64 vcc, exec, s[0:1]
	s_cbranch_vccnz .LBB11_1084
; %bb.1076:
	s_sext_i32_i16 s2, s12
	s_cmp_lt_i32 s2, 6
	s_mov_b64 s[0:1], -1
	s_cbranch_scc1 .LBB11_1082
; %bb.1077:
	s_cmp_gt_i32 s2, 6
	s_cbranch_scc0 .LBB11_1079
; %bb.1078:
	global_store_dwordx2 v[4:5], v[0:1], off
	s_mov_b64 s[0:1], 0
.LBB11_1079:
	s_andn2_b64 vcc, exec, s[0:1]
	s_cbranch_vccnz .LBB11_1081
; %bb.1080:
	v_cvt_f32_f64_e32 v2, v[0:1]
	global_store_dword v[4:5], v2, off
.LBB11_1081:
	s_mov_b64 s[0:1], 0
.LBB11_1082:
	s_andn2_b64 vcc, exec, s[0:1]
	s_cbranch_vccnz .LBB11_1084
; %bb.1083:
	s_movk_i32 s0, 0x1ff
	v_and_or_b32 v2, v1, s0, v0
	v_cmp_ne_u32_e32 vcc, 0, v2
	v_lshrrev_b32_e32 v3, 8, v1
	s_movk_i32 s0, 0xffe
	v_cndmask_b32_e64 v2, 0, 1, vcc
	v_bfe_u32 v6, v1, 20, 11
	v_and_or_b32 v2, v3, s0, v2
	v_sub_u32_e32 v7, 0x3f1, v6
	v_or_b32_e32 v3, 0x1000, v2
	v_med3_i32 v7, v7, 0, 13
	v_lshrrev_b32_e32 v8, v7, v3
	v_lshlrev_b32_e32 v7, v7, v8
	v_cmp_ne_u32_e32 vcc, v7, v3
	v_add_u32_e32 v6, 0xfffffc10, v6
	v_lshl_or_b32 v7, v6, 12, v2
	v_cndmask_b32_e64 v3, 0, 1, vcc
	v_or_b32_e32 v3, v8, v3
	v_cmp_gt_i32_e32 vcc, 1, v6
	s_movk_i32 s0, 0x40f
	s_nop 0
	v_cndmask_b32_e32 v3, v7, v3, vcc
	v_and_b32_e32 v7, 7, v3
	v_cmp_lt_i32_e32 vcc, 5, v7
	v_lshrrev_b32_e32 v3, 2, v3
	s_nop 0
	v_cndmask_b32_e64 v8, 0, 1, vcc
	v_cmp_eq_u32_e32 vcc, 3, v7
	s_nop 1
	v_cndmask_b32_e64 v7, 0, 1, vcc
	v_or_b32_e32 v7, v7, v8
	v_add_u32_e32 v3, v3, v7
	v_mov_b32_e32 v7, 0x7c00
	v_cmp_gt_i32_e32 vcc, 31, v6
	v_mov_b32_e32 v8, 0x7e00
	s_nop 0
	v_cndmask_b32_e32 v3, v7, v3, vcc
	v_cmp_ne_u32_e32 vcc, 0, v2
	s_nop 1
	v_cndmask_b32_e32 v2, v7, v8, vcc
	v_cmp_eq_u32_e32 vcc, s0, v6
	s_mov_b32 s0, 0x8000
	s_nop 0
	v_cndmask_b32_e32 v2, v3, v2, vcc
	v_lshrrev_b32_e32 v3, 16, v1
	v_and_or_b32 v2, v3, s0, v2
	global_store_short v[4:5], v2, off
.LBB11_1084:
	s_mov_b64 s[0:1], 0
.LBB11_1085:
	s_andn2_b64 vcc, exec, s[0:1]
	s_cbranch_vccnz .LBB11_1101
; %bb.1086:
	s_sext_i32_i16 s2, s12
	s_cmp_lt_i32 s2, 2
	s_mov_b64 s[0:1], -1
	s_cbranch_scc1 .LBB11_1096
; %bb.1087:
	s_cmp_lt_i32 s2, 3
	s_cbranch_scc1 .LBB11_1093
; %bb.1088:
	s_cmp_gt_i32 s2, 3
	s_cbranch_scc0 .LBB11_1090
; %bb.1089:
	v_trunc_f64_e32 v[2:3], v[0:1]
	s_movk_i32 s0, 0xffe0
	v_ldexp_f64 v[6:7], v[2:3], s0
	v_floor_f64_e32 v[6:7], v[6:7]
	v_fmac_f64_e32 v[2:3], 0xc1f00000, v[6:7]
	v_cvt_i32_f64_e32 v9, v[6:7]
	v_cvt_u32_f64_e32 v8, v[2:3]
	global_store_dwordx2 v[4:5], v[8:9], off
	s_mov_b64 s[0:1], 0
.LBB11_1090:
	s_andn2_b64 vcc, exec, s[0:1]
	s_cbranch_vccnz .LBB11_1092
; %bb.1091:
	v_cvt_i32_f64_e32 v2, v[0:1]
	global_store_dword v[4:5], v2, off
.LBB11_1092:
	s_mov_b64 s[0:1], 0
.LBB11_1093:
	s_andn2_b64 vcc, exec, s[0:1]
	s_cbranch_vccnz .LBB11_1095
; %bb.1094:
	v_cvt_i32_f64_e32 v2, v[0:1]
	global_store_short v[4:5], v2, off
.LBB11_1095:
	s_mov_b64 s[0:1], 0
.LBB11_1096:
	s_andn2_b64 vcc, exec, s[0:1]
	s_cbranch_vccnz .LBB11_1101
; %bb.1097:
	s_sext_i32_i16 s0, s12
	s_cmp_gt_i32 s0, 0
	s_mov_b64 s[0:1], -1
	s_cbranch_scc0 .LBB11_1099
; %bb.1098:
	v_cvt_i32_f64_e32 v2, v[0:1]
	global_store_byte v[4:5], v2, off
	s_mov_b64 s[0:1], 0
.LBB11_1099:
	s_andn2_b64 vcc, exec, s[0:1]
	s_cbranch_vccnz .LBB11_1101
; %bb.1100:
	v_trunc_f64_e32 v[0:1], v[0:1]
	s_movk_i32 s0, 0xffe0
	v_ldexp_f64 v[2:3], v[0:1], s0
	v_floor_f64_e32 v[2:3], v[2:3]
	v_fmac_f64_e32 v[0:1], 0xc1f00000, v[2:3]
	v_cvt_u32_f64_e32 v0, v[0:1]
	global_store_byte v[4:5], v0, off
	s_endpgm
.LBB11_1101:
	s_endpgm
.LBB11_1102:
	s_mov_b64 s[4:5], 0
	s_mov_b64 s[0:1], -1
	s_branch .LBB11_1058
.LBB11_1103:
	s_andn2_saveexec_b64 s[8:9], s[8:9]
	s_cbranch_execz .LBB11_655
.LBB11_1104:
	s_mov_b32 s12, 0x46000000
	v_add_f32_e64 v5, |v4|, s12
	v_and_b32_e32 v5, 0xff, v5
	v_cmp_ne_u32_e32 vcc, 0, v5
	s_andn2_b64 s[6:7], s[6:7], exec
	s_and_b64 s[12:13], vcc, exec
	s_or_b64 s[6:7], s[6:7], s[12:13]
	s_or_b64 exec, exec, s[8:9]
	v_mov_b32_e32 v6, 0
	s_and_saveexec_b64 s[8:9], s[6:7]
	s_cbranch_execnz .LBB11_656
	s_branch .LBB11_657
.LBB11_1105:
	s_or_b64 s[2:3], s[40:41], exec
	s_trap 2
	s_cbranch_execz .LBB11_703
	s_branch .LBB11_704
.LBB11_1106:
	s_andn2_saveexec_b64 s[6:7], s[6:7]
	s_cbranch_execz .LBB11_668
.LBB11_1107:
	s_mov_b32 s8, 0x42800000
	v_add_f32_e64 v5, |v4|, s8
	v_and_b32_e32 v5, 0xff, v5
	v_cmp_ne_u32_e32 vcc, 0, v5
	s_andn2_b64 s[4:5], s[4:5], exec
	s_and_b64 s[8:9], vcc, exec
	s_or_b64 s[4:5], s[4:5], s[8:9]
	s_or_b64 exec, exec, s[6:7]
	v_mov_b32_e32 v6, 0
	s_and_saveexec_b64 s[6:7], s[4:5]
	s_cbranch_execnz .LBB11_669
	s_branch .LBB11_670
.LBB11_1108:
	s_andn2_saveexec_b64 s[10:11], s[10:11]
	s_cbranch_execz .LBB11_773
.LBB11_1109:
	s_mov_b32 s14, 0x46000000
	v_add_f32_e64 v5, |v4|, s14
	v_and_b32_e32 v5, 0xff, v5
	v_cmp_ne_u32_e32 vcc, 0, v5
	s_andn2_b64 s[8:9], s[8:9], exec
	s_and_b64 s[14:15], vcc, exec
	s_or_b64 s[8:9], s[8:9], s[14:15]
	s_or_b64 exec, exec, s[10:11]
	v_mov_b32_e32 v6, 0
	s_and_saveexec_b64 s[10:11], s[8:9]
	s_cbranch_execnz .LBB11_774
	s_branch .LBB11_775
.LBB11_1110:
	s_trap 2
	s_or_b64 s[2:3], s[2:3], exec
	s_cbranch_execz .LBB11_821
	s_branch .LBB11_822
.LBB11_1111:
	s_andn2_saveexec_b64 s[8:9], s[8:9]
	s_cbranch_execz .LBB11_786
.LBB11_1112:
	s_mov_b32 s10, 0x42800000
	v_add_f32_e64 v5, |v4|, s10
	v_and_b32_e32 v5, 0xff, v5
	v_cmp_ne_u32_e32 vcc, 0, v5
	s_andn2_b64 s[6:7], s[6:7], exec
	s_and_b64 s[10:11], vcc, exec
	s_or_b64 s[6:7], s[6:7], s[10:11]
	s_or_b64 exec, exec, s[8:9]
	v_mov_b32_e32 v6, 0
	s_and_saveexec_b64 s[8:9], s[6:7]
	s_cbranch_execnz .LBB11_787
	s_branch .LBB11_788
.LBB11_1113:
	s_andn2_saveexec_b64 s[10:11], s[10:11]
	s_cbranch_execz .LBB11_891
.LBB11_1114:
	s_mov_b32 s14, 0x46000000
	v_add_f32_e64 v5, |v4|, s14
	v_and_b32_e32 v5, 0xff, v5
	v_cmp_ne_u32_e32 vcc, 0, v5
	s_andn2_b64 s[8:9], s[8:9], exec
	s_and_b64 s[14:15], vcc, exec
	s_or_b64 s[8:9], s[8:9], s[14:15]
	s_or_b64 exec, exec, s[10:11]
	v_mov_b32_e32 v6, 0
	s_and_saveexec_b64 s[10:11], s[8:9]
	s_cbranch_execnz .LBB11_892
	s_branch .LBB11_893
.LBB11_1115:
	s_trap 2
	s_or_b64 s[2:3], s[2:3], exec
	s_cbranch_execz .LBB11_939
	s_branch .LBB11_940
.LBB11_1116:
	s_andn2_saveexec_b64 s[6:7], s[6:7]
	s_cbranch_execz .LBB11_341
.LBB11_1117:
	s_mov_b32 s10, 0x46000000
	v_add_f32_e64 v3, |v2|, s10
	v_and_b32_e32 v3, 0xff, v3
	v_cmp_ne_u32_e32 vcc, 0, v3
	s_andn2_b64 s[4:5], s[4:5], exec
	s_and_b64 s[10:11], vcc, exec
	s_or_b64 s[4:5], s[4:5], s[10:11]
	s_or_b64 exec, exec, s[6:7]
	v_mov_b32_e32 v6, 0
	s_and_saveexec_b64 s[6:7], s[4:5]
	s_cbranch_execnz .LBB11_342
	s_branch .LBB11_343
.LBB11_1118:
	s_andn2_saveexec_b64 s[8:9], s[8:9]
	s_cbranch_execz .LBB11_904
.LBB11_1119:
	s_mov_b32 s10, 0x42800000
	v_add_f32_e64 v5, |v4|, s10
	v_and_b32_e32 v5, 0xff, v5
	v_cmp_ne_u32_e32 vcc, 0, v5
	s_andn2_b64 s[6:7], s[6:7], exec
	s_and_b64 s[10:11], vcc, exec
	s_or_b64 s[6:7], s[6:7], s[10:11]
	s_or_b64 exec, exec, s[8:9]
	v_mov_b32_e32 v6, 0
	s_and_saveexec_b64 s[8:9], s[6:7]
	s_cbranch_execnz .LBB11_905
	s_branch .LBB11_906
.LBB11_1120:
	s_andn2_saveexec_b64 s[10:11], s[10:11]
	s_cbranch_execz .LBB11_971
.LBB11_1121:
	s_mov_b32 s14, 0x46000000
	v_add_f32_e64 v3, |v2|, s14
	v_and_b32_e32 v3, 0xff, v3
	v_cmp_ne_u32_e32 vcc, 0, v3
	s_andn2_b64 s[8:9], s[8:9], exec
	s_and_b64 s[14:15], vcc, exec
	s_or_b64 s[8:9], s[8:9], s[14:15]
	s_or_b64 exec, exec, s[10:11]
	v_mov_b32_e32 v6, 0
	s_and_saveexec_b64 s[10:11], s[8:9]
	s_cbranch_execnz .LBB11_972
	s_branch .LBB11_973
.LBB11_1122:
	s_mov_b64 s[4:5], 0
	s_or_b64 s[2:3], s[2:3], exec
	s_trap 2
	s_branch .LBB11_1017
.LBB11_1123:
	s_andn2_saveexec_b64 s[6:7], s[6:7]
	s_cbranch_execz .LBB11_354
.LBB11_1124:
	s_mov_b32 s10, 0x42800000
	v_add_f32_e64 v3, |v2|, s10
	v_and_b32_e32 v3, 0xff, v3
	v_cmp_ne_u32_e32 vcc, 0, v3
	s_andn2_b64 s[4:5], s[4:5], exec
	s_and_b64 s[10:11], vcc, exec
	s_or_b64 s[4:5], s[4:5], s[10:11]
	s_or_b64 exec, exec, s[6:7]
	v_mov_b32_e32 v6, 0
	s_and_saveexec_b64 s[6:7], s[4:5]
	s_cbranch_execnz .LBB11_355
	s_branch .LBB11_356
.LBB11_1125:
	s_andn2_saveexec_b64 s[6:7], s[6:7]
	s_cbranch_execz .LBB11_479
.LBB11_1126:
	s_mov_b32 s8, 0x46000000
	v_add_f32_e64 v3, |v2|, s8
	v_and_b32_e32 v3, 0xff, v3
	v_cmp_ne_u32_e32 vcc, 0, v3
	s_andn2_b64 s[4:5], s[4:5], exec
	s_and_b64 s[8:9], vcc, exec
	s_or_b64 s[4:5], s[4:5], s[8:9]
	s_or_b64 exec, exec, s[6:7]
	v_mov_b32_e32 v6, 0
	s_and_saveexec_b64 s[6:7], s[4:5]
	s_cbranch_execnz .LBB11_480
	s_branch .LBB11_481
.LBB11_1127:
	s_andn2_saveexec_b64 s[8:9], s[8:9]
	s_cbranch_execz .LBB11_983
.LBB11_1128:
	s_mov_b32 s10, 0x42800000
	v_add_f32_e64 v3, |v2|, s10
	v_and_b32_e32 v3, 0xff, v3
	v_cmp_ne_u32_e32 vcc, 0, v3
	s_andn2_b64 s[6:7], s[6:7], exec
	s_and_b64 s[10:11], vcc, exec
	s_or_b64 s[6:7], s[6:7], s[10:11]
	s_or_b64 exec, exec, s[8:9]
	v_mov_b32_e32 v6, 0
	s_and_saveexec_b64 s[8:9], s[6:7]
	s_cbranch_execnz .LBB11_984
	s_branch .LBB11_985
.LBB11_1129:
	s_andn2_saveexec_b64 s[8:9], s[8:9]
	s_cbranch_execz .LBB11_491
.LBB11_1130:
	s_mov_b32 s12, 0x42800000
	v_add_f32_e64 v3, |v2|, s12
	v_and_b32_e32 v3, 0xff, v3
	v_cmp_ne_u32_e32 vcc, 0, v3
	s_andn2_b64 s[6:7], s[6:7], exec
	s_and_b64 s[12:13], vcc, exec
	s_or_b64 s[6:7], s[6:7], s[12:13]
	s_or_b64 exec, exec, s[8:9]
	v_mov_b32_e32 v6, 0
	s_and_saveexec_b64 s[8:9], s[6:7]
	s_cbranch_execnz .LBB11_492
	s_branch .LBB11_493
	.section	.rodata,"a",@progbits
	.p2align	6, 0x0
	.amdhsa_kernel _ZN2at6native32elementwise_kernel_manual_unrollILi128ELi4EZNS0_15gpu_kernel_implIZZZNS0_12_GLOBAL__N_121bessel_y1_kernel_cudaERNS_18TensorIteratorBaseEENKUlvE_clEvENKUlvE_clEvEUldE_EEvS5_RKT_EUlibE0_EEviT1_
		.amdhsa_group_segment_fixed_size 0
		.amdhsa_private_segment_fixed_size 0
		.amdhsa_kernarg_size 360
		.amdhsa_user_sgpr_count 2
		.amdhsa_user_sgpr_dispatch_ptr 0
		.amdhsa_user_sgpr_queue_ptr 0
		.amdhsa_user_sgpr_kernarg_segment_ptr 1
		.amdhsa_user_sgpr_dispatch_id 0
		.amdhsa_user_sgpr_kernarg_preload_length 0
		.amdhsa_user_sgpr_kernarg_preload_offset 0
		.amdhsa_user_sgpr_private_segment_size 0
		.amdhsa_uses_dynamic_stack 0
		.amdhsa_enable_private_segment 0
		.amdhsa_system_sgpr_workgroup_id_x 1
		.amdhsa_system_sgpr_workgroup_id_y 0
		.amdhsa_system_sgpr_workgroup_id_z 0
		.amdhsa_system_sgpr_workgroup_info 0
		.amdhsa_system_vgpr_workitem_id 0
		.amdhsa_next_free_vgpr 54
		.amdhsa_next_free_sgpr 79
		.amdhsa_accum_offset 56
		.amdhsa_reserve_vcc 1
		.amdhsa_float_round_mode_32 0
		.amdhsa_float_round_mode_16_64 0
		.amdhsa_float_denorm_mode_32 3
		.amdhsa_float_denorm_mode_16_64 3
		.amdhsa_dx10_clamp 1
		.amdhsa_ieee_mode 1
		.amdhsa_fp16_overflow 0
		.amdhsa_tg_split 0
		.amdhsa_exception_fp_ieee_invalid_op 0
		.amdhsa_exception_fp_denorm_src 0
		.amdhsa_exception_fp_ieee_div_zero 0
		.amdhsa_exception_fp_ieee_overflow 0
		.amdhsa_exception_fp_ieee_underflow 0
		.amdhsa_exception_fp_ieee_inexact 0
		.amdhsa_exception_int_div_zero 0
	.end_amdhsa_kernel
	.section	.text._ZN2at6native32elementwise_kernel_manual_unrollILi128ELi4EZNS0_15gpu_kernel_implIZZZNS0_12_GLOBAL__N_121bessel_y1_kernel_cudaERNS_18TensorIteratorBaseEENKUlvE_clEvENKUlvE_clEvEUldE_EEvS5_RKT_EUlibE0_EEviT1_,"axG",@progbits,_ZN2at6native32elementwise_kernel_manual_unrollILi128ELi4EZNS0_15gpu_kernel_implIZZZNS0_12_GLOBAL__N_121bessel_y1_kernel_cudaERNS_18TensorIteratorBaseEENKUlvE_clEvENKUlvE_clEvEUldE_EEvS5_RKT_EUlibE0_EEviT1_,comdat
.Lfunc_end11:
	.size	_ZN2at6native32elementwise_kernel_manual_unrollILi128ELi4EZNS0_15gpu_kernel_implIZZZNS0_12_GLOBAL__N_121bessel_y1_kernel_cudaERNS_18TensorIteratorBaseEENKUlvE_clEvENKUlvE_clEvEUldE_EEvS5_RKT_EUlibE0_EEviT1_, .Lfunc_end11-_ZN2at6native32elementwise_kernel_manual_unrollILi128ELi4EZNS0_15gpu_kernel_implIZZZNS0_12_GLOBAL__N_121bessel_y1_kernel_cudaERNS_18TensorIteratorBaseEENKUlvE_clEvENKUlvE_clEvEUldE_EEvS5_RKT_EUlibE0_EEviT1_
                                        ; -- End function
	.set _ZN2at6native32elementwise_kernel_manual_unrollILi128ELi4EZNS0_15gpu_kernel_implIZZZNS0_12_GLOBAL__N_121bessel_y1_kernel_cudaERNS_18TensorIteratorBaseEENKUlvE_clEvENKUlvE_clEvEUldE_EEvS5_RKT_EUlibE0_EEviT1_.num_vgpr, max(54, .L_ZN2at6native6invokeIZZZNS0_12_GLOBAL__N_121bessel_y1_kernel_cudaERNS_18TensorIteratorBaseEENKUlvE_clEvENKUlvE_clEvEUldE_j15function_traitsIS7_EEENT1_11result_typeERKT_PrKPcPKT0_PKN3c1010ScalarTypeEi.num_vgpr)
	.set _ZN2at6native32elementwise_kernel_manual_unrollILi128ELi4EZNS0_15gpu_kernel_implIZZZNS0_12_GLOBAL__N_121bessel_y1_kernel_cudaERNS_18TensorIteratorBaseEENKUlvE_clEvENKUlvE_clEvEUldE_EEvS5_RKT_EUlibE0_EEviT1_.num_agpr, max(0, .L_ZN2at6native6invokeIZZZNS0_12_GLOBAL__N_121bessel_y1_kernel_cudaERNS_18TensorIteratorBaseEENKUlvE_clEvENKUlvE_clEvEUldE_j15function_traitsIS7_EEENT1_11result_typeERKT_PrKPcPKT0_PKN3c1010ScalarTypeEi.num_agpr)
	.set _ZN2at6native32elementwise_kernel_manual_unrollILi128ELi4EZNS0_15gpu_kernel_implIZZZNS0_12_GLOBAL__N_121bessel_y1_kernel_cudaERNS_18TensorIteratorBaseEENKUlvE_clEvENKUlvE_clEvEUldE_EEvS5_RKT_EUlibE0_EEviT1_.numbered_sgpr, max(79, .L_ZN2at6native6invokeIZZZNS0_12_GLOBAL__N_121bessel_y1_kernel_cudaERNS_18TensorIteratorBaseEENKUlvE_clEvENKUlvE_clEvEUldE_j15function_traitsIS7_EEENT1_11result_typeERKT_PrKPcPKT0_PKN3c1010ScalarTypeEi.numbered_sgpr)
	.set _ZN2at6native32elementwise_kernel_manual_unrollILi128ELi4EZNS0_15gpu_kernel_implIZZZNS0_12_GLOBAL__N_121bessel_y1_kernel_cudaERNS_18TensorIteratorBaseEENKUlvE_clEvENKUlvE_clEvEUldE_EEvS5_RKT_EUlibE0_EEviT1_.num_named_barrier, max(0, .L_ZN2at6native6invokeIZZZNS0_12_GLOBAL__N_121bessel_y1_kernel_cudaERNS_18TensorIteratorBaseEENKUlvE_clEvENKUlvE_clEvEUldE_j15function_traitsIS7_EEENT1_11result_typeERKT_PrKPcPKT0_PKN3c1010ScalarTypeEi.num_named_barrier)
	.set _ZN2at6native32elementwise_kernel_manual_unrollILi128ELi4EZNS0_15gpu_kernel_implIZZZNS0_12_GLOBAL__N_121bessel_y1_kernel_cudaERNS_18TensorIteratorBaseEENKUlvE_clEvENKUlvE_clEvEUldE_EEvS5_RKT_EUlibE0_EEviT1_.private_seg_size, 0+max(.L_ZN2at6native6invokeIZZZNS0_12_GLOBAL__N_121bessel_y1_kernel_cudaERNS_18TensorIteratorBaseEENKUlvE_clEvENKUlvE_clEvEUldE_j15function_traitsIS7_EEENT1_11result_typeERKT_PrKPcPKT0_PKN3c1010ScalarTypeEi.private_seg_size)
	.set _ZN2at6native32elementwise_kernel_manual_unrollILi128ELi4EZNS0_15gpu_kernel_implIZZZNS0_12_GLOBAL__N_121bessel_y1_kernel_cudaERNS_18TensorIteratorBaseEENKUlvE_clEvENKUlvE_clEvEUldE_EEvS5_RKT_EUlibE0_EEviT1_.uses_vcc, or(1, .L_ZN2at6native6invokeIZZZNS0_12_GLOBAL__N_121bessel_y1_kernel_cudaERNS_18TensorIteratorBaseEENKUlvE_clEvENKUlvE_clEvEUldE_j15function_traitsIS7_EEENT1_11result_typeERKT_PrKPcPKT0_PKN3c1010ScalarTypeEi.uses_vcc)
	.set _ZN2at6native32elementwise_kernel_manual_unrollILi128ELi4EZNS0_15gpu_kernel_implIZZZNS0_12_GLOBAL__N_121bessel_y1_kernel_cudaERNS_18TensorIteratorBaseEENKUlvE_clEvENKUlvE_clEvEUldE_EEvS5_RKT_EUlibE0_EEviT1_.uses_flat_scratch, or(0, .L_ZN2at6native6invokeIZZZNS0_12_GLOBAL__N_121bessel_y1_kernel_cudaERNS_18TensorIteratorBaseEENKUlvE_clEvENKUlvE_clEvEUldE_j15function_traitsIS7_EEENT1_11result_typeERKT_PrKPcPKT0_PKN3c1010ScalarTypeEi.uses_flat_scratch)
	.set _ZN2at6native32elementwise_kernel_manual_unrollILi128ELi4EZNS0_15gpu_kernel_implIZZZNS0_12_GLOBAL__N_121bessel_y1_kernel_cudaERNS_18TensorIteratorBaseEENKUlvE_clEvENKUlvE_clEvEUldE_EEvS5_RKT_EUlibE0_EEviT1_.has_dyn_sized_stack, or(0, .L_ZN2at6native6invokeIZZZNS0_12_GLOBAL__N_121bessel_y1_kernel_cudaERNS_18TensorIteratorBaseEENKUlvE_clEvENKUlvE_clEvEUldE_j15function_traitsIS7_EEENT1_11result_typeERKT_PrKPcPKT0_PKN3c1010ScalarTypeEi.has_dyn_sized_stack)
	.set _ZN2at6native32elementwise_kernel_manual_unrollILi128ELi4EZNS0_15gpu_kernel_implIZZZNS0_12_GLOBAL__N_121bessel_y1_kernel_cudaERNS_18TensorIteratorBaseEENKUlvE_clEvENKUlvE_clEvEUldE_EEvS5_RKT_EUlibE0_EEviT1_.has_recursion, or(0, .L_ZN2at6native6invokeIZZZNS0_12_GLOBAL__N_121bessel_y1_kernel_cudaERNS_18TensorIteratorBaseEENKUlvE_clEvENKUlvE_clEvEUldE_j15function_traitsIS7_EEENT1_11result_typeERKT_PrKPcPKT0_PKN3c1010ScalarTypeEi.has_recursion)
	.set _ZN2at6native32elementwise_kernel_manual_unrollILi128ELi4EZNS0_15gpu_kernel_implIZZZNS0_12_GLOBAL__N_121bessel_y1_kernel_cudaERNS_18TensorIteratorBaseEENKUlvE_clEvENKUlvE_clEvEUldE_EEvS5_RKT_EUlibE0_EEviT1_.has_indirect_call, or(0, .L_ZN2at6native6invokeIZZZNS0_12_GLOBAL__N_121bessel_y1_kernel_cudaERNS_18TensorIteratorBaseEENKUlvE_clEvENKUlvE_clEvEUldE_j15function_traitsIS7_EEENT1_11result_typeERKT_PrKPcPKT0_PKN3c1010ScalarTypeEi.has_indirect_call)
	.section	.AMDGPU.csdata,"",@progbits
; Kernel info:
; codeLenInByte = 26144
; TotalNumSgprs: 85
; NumVgprs: 54
; NumAgprs: 0
; TotalNumVgprs: 54
; ScratchSize: 0
; MemoryBound: 0
; FloatMode: 240
; IeeeMode: 1
; LDSByteSize: 0 bytes/workgroup (compile time only)
; SGPRBlocks: 10
; VGPRBlocks: 6
; NumSGPRsForWavesPerEU: 85
; NumVGPRsForWavesPerEU: 54
; AccumOffset: 56
; Occupancy: 8
; WaveLimiterHint : 1
; COMPUTE_PGM_RSRC2:SCRATCH_EN: 0
; COMPUTE_PGM_RSRC2:USER_SGPR: 2
; COMPUTE_PGM_RSRC2:TRAP_HANDLER: 0
; COMPUTE_PGM_RSRC2:TGID_X_EN: 1
; COMPUTE_PGM_RSRC2:TGID_Y_EN: 0
; COMPUTE_PGM_RSRC2:TGID_Z_EN: 0
; COMPUTE_PGM_RSRC2:TIDIG_COMP_CNT: 0
; COMPUTE_PGM_RSRC3_GFX90A:ACCUM_OFFSET: 13
; COMPUTE_PGM_RSRC3_GFX90A:TG_SPLIT: 0
	.text
	.p2align	2                               ; -- Begin function _ZN2at6native25elementwise_kernel_helperILb0EZZZNS0_12_GLOBAL__N_121bessel_y1_kernel_cudaERNS_18TensorIteratorBaseEENKUlvE_clEvENKUlvE0_clEvEUlfE_NS0_6memory8policies11unroll_baseILi256ESt5arrayIPcLm2EE23TrivialOffsetCalculatorILi1EjESF_NS8_15LoadWithoutCastENS8_16StoreWithoutCastELi4ELi1EEEEEvT0_T1_
	.type	_ZN2at6native25elementwise_kernel_helperILb0EZZZNS0_12_GLOBAL__N_121bessel_y1_kernel_cudaERNS_18TensorIteratorBaseEENKUlvE_clEvENKUlvE0_clEvEUlfE_NS0_6memory8policies11unroll_baseILi256ESt5arrayIPcLm2EE23TrivialOffsetCalculatorILi1EjESF_NS8_15LoadWithoutCastENS8_16StoreWithoutCastELi4ELi1EEEEEvT0_T1_,@function
_ZN2at6native25elementwise_kernel_helperILb0EZZZNS0_12_GLOBAL__N_121bessel_y1_kernel_cudaERNS_18TensorIteratorBaseEENKUlvE_clEvENKUlvE0_clEvEUlfE_NS0_6memory8policies11unroll_baseILi256ESt5arrayIPcLm2EE23TrivialOffsetCalculatorILi1EjESF_NS8_15LoadWithoutCastENS8_16StoreWithoutCastELi4ELi1EEEEEvT0_T1_: ; @_ZN2at6native25elementwise_kernel_helperILb0EZZZNS0_12_GLOBAL__N_121bessel_y1_kernel_cudaERNS_18TensorIteratorBaseEENKUlvE_clEvENKUlvE0_clEvEUlfE_NS0_6memory8policies11unroll_baseILi256ESt5arrayIPcLm2EE23TrivialOffsetCalculatorILi1EjESF_NS8_15LoadWithoutCastENS8_16StoreWithoutCastELi4ELi1EEEEEvT0_T1_
; %bb.0:
	s_waitcnt vmcnt(0) expcnt(0) lgkmcnt(0)
	v_and_b32_e32 v7, 0x3ff, v31
	s_lshl_b32 s16, s12, 10
	v_cmp_lt_i32_e64 s[0:1], v7, v4
	v_mov_b32_e32 v12, 0
	v_or_b32_e32 v8, s16, v7
	v_mov_b32_e32 v10, 0
	v_mov_b32_e32 v5, v7
	s_and_saveexec_b64 s[2:3], s[0:1]
	s_cbranch_execz .LBB12_2
; %bb.1:
	v_mov_b32_e32 v9, 0
	v_lshl_add_u64 v[10:11], v[8:9], 2, v[2:3]
	flat_load_dword v10, v[10:11]
	v_add_u32_e32 v5, 0x100, v7
.LBB12_2:
	s_or_b64 exec, exec, s[2:3]
	v_cmp_lt_i32_e32 vcc, v5, v4
	s_and_saveexec_b64 s[2:3], vcc
	s_cbranch_execz .LBB12_4
; %bb.3:
	v_add_u32_e32 v12, s16, v5
	v_mov_b32_e32 v13, 0
	v_lshl_add_u64 v[12:13], v[12:13], 2, v[2:3]
	flat_load_dword v12, v[12:13]
	v_add_u32_e32 v5, 0x100, v5
.LBB12_4:
	s_or_b64 exec, exec, s[2:3]
	v_cmp_lt_i32_e32 vcc, v5, v4
	v_mov_b32_e32 v9, 0
	v_mov_b32_e32 v11, 0
	s_and_saveexec_b64 s[2:3], vcc
	s_cbranch_execz .LBB12_6
; %bb.5:
	v_add_u32_e32 v14, s16, v5
	v_mov_b32_e32 v15, 0
	v_lshl_add_u64 v[14:15], v[14:15], 2, v[2:3]
	flat_load_dword v11, v[14:15]
	v_add_u32_e32 v5, 0x100, v5
.LBB12_6:
	s_or_b64 exec, exec, s[2:3]
	v_cmp_lt_i32_e32 vcc, v5, v4
	s_and_saveexec_b64 s[2:3], vcc
	s_cbranch_execz .LBB12_8
; %bb.7:
	v_add_u32_e32 v14, s16, v5
	v_mov_b32_e32 v15, 0
	v_lshl_add_u64 v[2:3], v[14:15], 2, v[2:3]
	flat_load_dword v9, v[2:3]
.LBB12_8:
	s_or_b64 exec, exec, s[2:3]
	v_mov_b32_e32 v2, 0
	v_mov_b32_e32 v5, v2
	;; [unrolled: 1-line block ×4, first 2 shown]
	s_and_saveexec_b64 s[8:9], s[0:1]
	s_cbranch_execz .LBB12_26
; %bb.9:
	s_mov_b32 s2, 0x40a00000
	s_waitcnt vmcnt(0) lgkmcnt(0)
	v_cmp_ge_f32_e32 vcc, s2, v10
                                        ; implicit-def: $vgpr2
	s_and_saveexec_b64 s[2:3], vcc
	s_xor_b64 s[4:5], exec, s[2:3]
	s_cbranch_execz .LBB12_15
; %bb.10:
	v_cmp_neq_f32_e32 vcc, 0, v10
	v_mov_b32_e32 v2, 0xff800000
	s_and_saveexec_b64 s[6:7], vcc
	s_cbranch_execz .LBB12_14
; %bb.11:
	v_cmp_nge_f32_e32 vcc, 0, v10
	v_mov_b32_e32 v2, 0x7fc00000
	s_and_saveexec_b64 s[10:11], vcc
	s_cbranch_execz .LBB12_13
; %bb.12:
	v_mul_f32_e32 v2, v10, v10
	v_mov_b32_e32 v3, 0x4414934d
	v_fmac_f32_e32 v3, 0, v2
	v_fmaak_f32 v3, v2, v3, 0x48660b06
	s_mov_b32 s2, 0x4e9695f3
	v_mul_f32_e32 v14, 0, v2
	v_mul_f32_e32 v15, v2, v3
	s_mov_b32 s3, 0x4c8c277d
	v_pk_add_f32 v[16:17], v[14:15], s[2:3]
	s_mov_b32 s2, 0xd316b96b
	s_mov_b32 s3, 0x508bc61d
	v_pk_fma_f32 v[16:17], v[2:3], v[16:17], s[2:3] op_sel_hi:[0,1,1]
	s_mov_b32 s2, 0x56d04aa6
	s_mov_b32 s3, 0x5461faf8
	v_pk_fma_f32 v[16:17], v[2:3], v[16:17], s[2:3] op_sel_hi:[0,1,1]
	;; [unrolled: 3-line block ×5, first 2 shown]
	v_div_scale_f32 v3, s[2:3], v17, v17, v16
	v_rcp_f32_e32 v5, v3
	s_mov_b32 s2, 0xce5691e2
	s_mov_b32 s3, 0x548a37dc
	v_fma_f32 v6, -v3, v5, 1.0
	v_fmac_f32_e32 v5, v6, v5
	v_div_scale_f32 v6, vcc, v16, v17, v16
	v_mul_f32_e32 v13, v6, v5
	v_fma_f32 v15, -v3, v13, v6
	v_fmac_f32_e32 v13, v15, v5
	v_fma_f32 v3, -v3, v13, v6
	v_mov_b32_e32 v6, 0x441b3589
	v_fmac_f32_e32 v6, 0, v2
	v_fmaak_f32 v6, v2, v6, 0x487af6d0
	v_fmaak_f32 v6, v2, v6, 0x4c9f4aa7
	;; [unrolled: 1-line block ×3, first 2 shown]
	v_mul_f32_e32 v15, v2, v6
	v_pk_add_f32 v[14:15], v[14:15], s[2:3]
	s_mov_b32 s2, 0x52d295d0
	s_mov_b32 s3, 0x58325852
	v_pk_fma_f32 v[14:15], v[2:3], v[14:15], s[2:3] op_sel_hi:[0,1,1]
	s_mov_b32 s2, 0xd6845497
	s_mov_b32 s3, 0x5b9f0600
	v_pk_fma_f32 v[14:15], v[2:3], v[14:15], s[2:3] op_sel_hi:[0,1,1]
	;; [unrolled: 3-line block ×3, first 2 shown]
	v_div_scale_f32 v6, s[2:3], v15, v15, v14
	v_rcp_f32_e32 v18, v6
	v_div_fmas_f32 v3, v3, v5, v13
	v_div_fixup_f32 v5, v3, v17, v16
	s_mov_b32 s2, 0xc244dfb3
	v_fma_f32 v3, -v6, v18, 1.0
	v_fmac_f32_e32 v18, v3, v18
	v_div_scale_f32 v3, vcc, v14, v15, v14
	v_mul_f32_e32 v13, v3, v18
	v_fma_f32 v16, -v6, v13, v3
	v_fmac_f32_e32 v13, v16, v18
	v_fma_f32 v3, -v6, v13, v3
	v_div_fmas_f32 v3, v3, v18, v13
	v_div_fixup_f32 v3, v3, v15, v14
	s_mov_b32 s3, 0xc16ae95a
	v_mul_f32_e32 v6, v10, v3
	v_pk_add_f32 v[2:3], v[2:3], s[2:3] op_sel_hi:[0,1]
	s_mov_b32 s2, 0x800000
	v_cmp_gt_f32_e32 vcc, s2, v10
	v_mul_f32_e32 v3, v3, v6
	v_mul_f32_e32 v2, v2, v3
	v_cndmask_b32_e64 v13, 0, 32, vcc
	v_ldexp_f32 v13, v10, v13
	v_log_f32_e32 v13, v13
	s_mov_b32 s2, 0x3f317217
	v_mov_b32_e32 v14, 0x41b17218
	v_cndmask_b32_e32 v14, 0, v14, vcc
	v_mul_f32_e32 v3, 0x3f317217, v13
	v_fma_f32 v3, v13, s2, -v3
	v_fmamk_f32 v3, v13, 0x3377d1cf, v3
	s_mov_b32 s2, 0x7f800000
	v_fmac_f32_e32 v3, 0x3f317217, v13
	v_cmp_lt_f32_e64 s[2:3], |v13|, s2
	s_nop 1
	v_cndmask_b32_e64 v3, v13, v3, s[2:3]
	v_div_scale_f32 v6, s[2:3], v10, v10, -1.0
	v_rcp_f32_e32 v13, v6
	v_sub_f32_e32 v3, v3, v14
	v_fma_f32 v14, -v6, v13, 1.0
	v_fmac_f32_e32 v13, v14, v13
	v_div_scale_f32 v14, vcc, -1.0, v10, -1.0
	v_mul_f32_e32 v15, v14, v13
	v_fma_f32 v16, -v6, v15, v14
	v_fmac_f32_e32 v15, v16, v13
	v_fma_f32 v6, -v6, v15, v14
	v_div_fmas_f32 v6, v6, v13, v15
	v_div_fixup_f32 v6, v6, v10, -1.0
	v_fmac_f32_e32 v6, v3, v2
	v_mul_f32_e32 v2, 0x3f22f983, v6
	v_fmac_f32_e32 v2, v10, v5
.LBB12_13:
	s_or_b64 exec, exec, s[10:11]
.LBB12_14:
	s_or_b64 exec, exec, s[6:7]
                                        ; implicit-def: $vgpr10
.LBB12_15:
	s_andn2_saveexec_b64 s[10:11], s[4:5]
	s_cbranch_execz .LBB12_25
; %bb.16:
	v_add_f32_e32 v2, 0xc016cbe4, v10
	v_and_b32_e32 v3, 0x7fffffff, v2
	s_brev_b32 s2, 18
	v_cmp_nlt_f32_e64 s[12:13], |v2|, s2
	v_lshrrev_b32_e32 v13, 23, v3
                                        ; implicit-def: $vgpr5
                                        ; implicit-def: $vgpr6
	s_and_saveexec_b64 s[2:3], s[12:13]
	s_xor_b64 s[14:15], exec, s[2:3]
	s_cbranch_execz .LBB12_18
; %bb.17:
	v_add_u32_e32 v5, 0xffffff88, v13
	v_not_b32_e32 v6, 63
	v_cmp_lt_u32_e32 vcc, 63, v5
	s_mov_b32 s6, 0xfe5163ab
	v_mov_b32_e32 v17, 0
	v_cndmask_b32_e32 v6, 0, v6, vcc
	v_add_u32_e32 v5, v6, v5
	v_not_b32_e32 v6, 31
	v_cmp_lt_u32_e64 s[2:3], 31, v5
	s_nop 1
	v_cndmask_b32_e64 v14, 0, v6, s[2:3]
	v_add_u32_e32 v5, v14, v5
	v_cmp_lt_u32_e64 s[4:5], 31, v5
	s_nop 1
	v_cndmask_b32_e64 v6, 0, v6, s[4:5]
	v_add_u32_e32 v5, v6, v5
	v_and_b32_e32 v6, 0x7fffff, v3
	v_or_b32_e32 v6, 0x800000, v6
	v_mad_u64_u32 v[14:15], s[6:7], v6, s6, 0
	v_mov_b32_e32 v16, v15
	s_mov_b32 s6, 0x3c439041
	v_mad_u64_u32 v[18:19], s[6:7], v6, s6, v[16:17]
	v_mov_b32_e32 v16, v19
	s_mov_b32 s6, 0xdb629599
	;; [unrolled: 3-line block ×6, first 2 shown]
	v_mad_u64_u32 v[16:17], s[6:7], v6, s6, v[16:17]
	v_cndmask_b32_e32 v15, v26, v22, vcc
	v_cndmask_b32_e32 v6, v16, v24, vcc
	v_cndmask_b32_e32 v17, v17, v26, vcc
	v_cndmask_b32_e64 v16, v6, v15, s[2:3]
	v_cndmask_b32_e64 v6, v17, v6, s[2:3]
	v_cndmask_b32_e32 v17, v24, v20, vcc
	v_cndmask_b32_e64 v15, v15, v17, s[2:3]
	v_cndmask_b32_e64 v6, v6, v16, s[4:5]
	;; [unrolled: 1-line block ×3, first 2 shown]
	v_sub_u32_e32 v19, 32, v5
	v_alignbit_b32 v21, v6, v16, v19
	v_cmp_eq_u32_e64 s[6:7], 0, v5
	v_cndmask_b32_e32 v14, v20, v14, vcc
	s_nop 0
	v_cndmask_b32_e64 v5, v21, v6, s[6:7]
	v_cndmask_b32_e32 v6, v22, v18, vcc
	v_cndmask_b32_e64 v17, v17, v6, s[2:3]
	v_cndmask_b32_e64 v15, v15, v17, s[4:5]
	v_alignbit_b32 v18, v16, v15, v19
	v_cndmask_b32_e64 v6, v6, v14, s[2:3]
	v_cndmask_b32_e64 v16, v18, v16, s[6:7]
	v_bfe_u32 v22, v5, 29, 1
	v_cndmask_b32_e64 v6, v17, v6, s[4:5]
	v_alignbit_b32 v18, v5, v16, 30
	v_sub_u32_e32 v23, 0, v22
	v_alignbit_b32 v14, v15, v6, v19
	v_xor_b32_e32 v18, v18, v23
	v_cndmask_b32_e64 v14, v14, v15, s[6:7]
	v_alignbit_b32 v15, v16, v14, 30
	v_ffbh_u32_e32 v16, v18
	v_min_u32_e32 v16, 32, v16
	v_alignbit_b32 v6, v14, v6, 30
	v_xor_b32_e32 v15, v15, v23
	v_sub_u32_e32 v17, 31, v16
	v_xor_b32_e32 v6, v6, v23
	v_alignbit_b32 v18, v18, v15, v17
	v_alignbit_b32 v6, v15, v6, v17
	;; [unrolled: 1-line block ×3, first 2 shown]
	v_ffbh_u32_e32 v15, v14
	v_min_u32_e32 v15, 32, v15
	v_lshrrev_b32_e32 v21, 29, v5
	v_not_b32_e32 v17, v15
	v_alignbit_b32 v6, v14, v6, v17
	v_lshlrev_b32_e32 v14, 31, v21
	v_or_b32_e32 v17, 0x33000000, v14
	v_add_lshl_u32 v15, v15, v16, 23
	v_lshrrev_b32_e32 v6, 9, v6
	v_sub_u32_e32 v15, v17, v15
	v_or_b32_e32 v14, 0.5, v14
	v_lshlrev_b32_e32 v16, 23, v16
	v_or_b32_e32 v6, v15, v6
	v_lshrrev_b32_e32 v15, 9, v18
	v_sub_u32_e32 v14, v14, v16
	v_or_b32_e32 v14, v15, v14
	s_mov_b32 s2, 0x3fc90fda
	v_mul_f32_e32 v15, 0x3fc90fda, v14
	v_fma_f32 v16, v14, s2, -v15
	v_fmamk_f32 v14, v14, 0x33a22168, v16
	v_fmac_f32_e32 v14, 0x3fc90fda, v6
	v_lshrrev_b32_e32 v5, 30, v5
	v_add_f32_e32 v6, v15, v14
	v_add_u32_e32 v5, v22, v5
	s_andn2_saveexec_b64 s[2:3], s[14:15]
	s_cbranch_execz .LBB12_20
	s_branch .LBB12_19
.LBB12_18:
	s_andn2_saveexec_b64 s[2:3], s[14:15]
	s_cbranch_execz .LBB12_20
.LBB12_19:
	s_mov_b32 s4, 0x3f22f983
	v_mul_f32_e64 v5, |v2|, s4
	v_rndne_f32_e32 v6, v5
	s_mov_b32 s4, 0xbfc90fda
	v_cvt_i32_f32_e32 v5, v6
	v_fma_f32 v14, v6, s4, |v2|
	v_fmamk_f32 v14, v6, 0xb3a22168, v14
	v_fmamk_f32 v6, v6, 0xa7c234c4, v14
.LBB12_20:
	s_or_b64 exec, exec, s[2:3]
                                        ; implicit-def: $vgpr14
                                        ; implicit-def: $vgpr15
	s_and_saveexec_b64 s[2:3], s[12:13]
	s_xor_b64 s[12:13], exec, s[2:3]
	s_cbranch_execz .LBB12_22
; %bb.21:
	v_add_u32_e32 v13, 0xffffff88, v13
	v_not_b32_e32 v14, 63
	v_cmp_lt_u32_e32 vcc, 63, v13
	s_mov_b32 s6, 0xfe5163ab
	v_mov_b32_e32 v17, 0
	v_cndmask_b32_e32 v14, 0, v14, vcc
	v_add_u32_e32 v13, v14, v13
	v_not_b32_e32 v14, 31
	v_cmp_lt_u32_e64 s[2:3], 31, v13
	s_nop 1
	v_cndmask_b32_e64 v15, 0, v14, s[2:3]
	v_add_u32_e32 v13, v15, v13
	v_cmp_lt_u32_e64 s[4:5], 31, v13
	s_nop 1
	v_cndmask_b32_e64 v14, 0, v14, s[4:5]
	v_add_u32_e32 v13, v14, v13
	v_and_b32_e32 v14, 0x7fffff, v3
	v_or_b32_e32 v28, 0x800000, v14
	v_mad_u64_u32 v[14:15], s[6:7], v28, s6, 0
	v_mov_b32_e32 v16, v15
	s_mov_b32 s6, 0x3c439041
	v_mad_u64_u32 v[18:19], s[6:7], v28, s6, v[16:17]
	v_mov_b32_e32 v16, v19
	s_mov_b32 s6, 0xdb629599
	;; [unrolled: 3-line block ×6, first 2 shown]
	v_mad_u64_u32 v[16:17], s[6:7], v28, s6, v[16:17]
	v_cndmask_b32_e32 v15, v26, v22, vcc
	v_cndmask_b32_e32 v16, v16, v24, vcc
	;; [unrolled: 1-line block ×3, first 2 shown]
	v_cndmask_b32_e64 v19, v16, v15, s[2:3]
	v_cndmask_b32_e64 v16, v17, v16, s[2:3]
	v_cndmask_b32_e32 v17, v24, v20, vcc
	v_cndmask_b32_e64 v15, v15, v17, s[2:3]
	v_cndmask_b32_e64 v16, v16, v19, s[4:5]
	;; [unrolled: 1-line block ×3, first 2 shown]
	v_sub_u32_e32 v21, 32, v13
	v_alignbit_b32 v23, v16, v19, v21
	v_cmp_eq_u32_e64 s[6:7], 0, v13
	v_cndmask_b32_e32 v14, v20, v14, vcc
	s_nop 0
	v_cndmask_b32_e64 v13, v23, v16, s[6:7]
	v_cndmask_b32_e32 v16, v22, v18, vcc
	v_cndmask_b32_e64 v17, v17, v16, s[2:3]
	v_cndmask_b32_e64 v15, v15, v17, s[4:5]
	v_alignbit_b32 v18, v19, v15, v21
	v_cndmask_b32_e64 v18, v18, v19, s[6:7]
	v_bfe_u32 v23, v13, 29, 1
	v_cndmask_b32_e64 v14, v16, v14, s[2:3]
	v_alignbit_b32 v19, v13, v18, 30
	v_sub_u32_e32 v24, 0, v23
	v_cndmask_b32_e64 v14, v17, v14, s[4:5]
	v_xor_b32_e32 v19, v19, v24
	v_alignbit_b32 v16, v15, v14, v21
	v_cndmask_b32_e64 v15, v16, v15, s[6:7]
	v_ffbh_u32_e32 v17, v19
	v_alignbit_b32 v16, v18, v15, 30
	v_min_u32_e32 v17, 32, v17
	v_alignbit_b32 v14, v15, v14, 30
	v_xor_b32_e32 v16, v16, v24
	v_sub_u32_e32 v18, 31, v17
	v_xor_b32_e32 v14, v14, v24
	v_alignbit_b32 v19, v19, v16, v18
	v_alignbit_b32 v14, v16, v14, v18
	;; [unrolled: 1-line block ×3, first 2 shown]
	v_ffbh_u32_e32 v16, v15
	v_min_u32_e32 v16, 32, v16
	v_lshrrev_b32_e32 v22, 29, v13
	v_not_b32_e32 v18, v16
	v_alignbit_b32 v14, v15, v14, v18
	v_lshlrev_b32_e32 v15, 31, v22
	v_or_b32_e32 v18, 0x33000000, v15
	v_add_lshl_u32 v16, v16, v17, 23
	v_lshrrev_b32_e32 v14, 9, v14
	v_sub_u32_e32 v16, v18, v16
	v_or_b32_e32 v15, 0.5, v15
	v_lshlrev_b32_e32 v17, 23, v17
	v_or_b32_e32 v14, v16, v14
	v_lshrrev_b32_e32 v16, 9, v19
	v_sub_u32_e32 v15, v15, v17
	v_or_b32_e32 v15, v16, v15
	s_mov_b32 s2, 0x3fc90fda
	v_mul_f32_e32 v16, 0x3fc90fda, v15
	v_fma_f32 v17, v15, s2, -v16
	v_fmamk_f32 v15, v15, 0x33a22168, v17
	v_fmac_f32_e32 v15, 0x3fc90fda, v14
	v_lshrrev_b32_e32 v13, 30, v13
	v_add_f32_e32 v15, v16, v15
	v_add_u32_e32 v14, v23, v13
	s_andn2_saveexec_b64 s[2:3], s[12:13]
	s_cbranch_execnz .LBB12_23
	s_branch .LBB12_24
.LBB12_22:
	s_andn2_saveexec_b64 s[2:3], s[12:13]
	s_cbranch_execz .LBB12_24
.LBB12_23:
	s_mov_b32 s4, 0x3f22f983
	v_mul_f32_e64 v13, |v2|, s4
	v_rndne_f32_e32 v13, v13
	s_mov_b32 s4, 0xbfc90fda
	v_cvt_i32_f32_e32 v14, v13
	v_fma_f32 v15, v13, s4, |v2|
	v_fmamk_f32 v15, v13, 0xb3a22168, v15
	v_fmamk_f32 v15, v13, 0xa7c234c4, v15
.LBB12_24:
	s_or_b64 exec, exec, s[2:3]
	s_mov_b32 s4, 0x40a00000
	v_div_scale_f32 v13, s[2:3], v10, v10, s4
	v_rcp_f32_e32 v16, v13
	v_div_scale_f32 v17, vcc, s4, v10, s4
	v_mov_b32_e32 v20, 0x42947983
	v_fma_f32 v18, -v13, v16, 1.0
	v_fmac_f32_e32 v16, v18, v16
	v_mul_f32_e32 v18, v17, v16
	v_fma_f32 v19, -v13, v18, v17
	v_fmac_f32_e32 v18, v19, v16
	v_fma_f32 v13, -v13, v18, v17
	v_div_fmas_f32 v13, v13, v16, v18
	v_div_fixup_f32 v13, v13, v10, s4
	v_mul_f32_e32 v16, v13, v13
	v_mov_b32_e32 v17, 0x3a47c962
	v_mov_b32_e32 v18, 0x3a15c4d9
	v_fmac_f32_e32 v17, 0, v16
	v_fmac_f32_e32 v18, 0, v16
	v_fmaak_f32 v17, v16, v17, 0x3d95ca45
	v_fmaak_f32 v18, v16, v18, 0x3d8cfeeb
	;; [unrolled: 1-line block ×8, first 2 shown]
	v_mov_b32_e32 v19, 0x3d513fd3
	v_fmaak_f32 v17, v16, v17, 0x40a6dd51
	v_fmaak_f32 v18, v16, v18, 0x40a6b6ea
	v_fmac_f32_e32 v19, 0, v16
	v_fma_f32 v18, v16, v18, 1.0
	v_fmaak_f32 v19, v16, v19, 0x409f6dae
	v_fmac_f32_e32 v20, 0, v16
	v_fma_f32 v17, v16, v17, 1.0
	v_fmaak_f32 v19, v16, v19, 0x4297a5cd
	v_fmaak_f32 v20, v16, v20, 0x44840e5d
	v_div_scale_f32 v21, s[2:3], v18, v18, v17
	v_fmaak_f32 v19, v16, v19, 0x43b763ca
	v_fmaak_f32 v20, v16, v20, 0x459bd349
	v_rcp_f32_e32 v22, v21
	v_fmaak_f32 v19, v16, v19, 0x4431b6ce
	v_fmaak_f32 v20, v16, v20, 0x46156947
	;; [unrolled: 1-line block ×8, first 2 shown]
	v_fma_f32 v20, -v21, v22, 1.0
	v_fmac_f32_e32 v22, v20, v22
	v_div_scale_f32 v20, vcc, v17, v18, v17
	v_mul_f32_e32 v23, v20, v22
	v_fma_f32 v24, -v21, v23, v20
	v_fmac_f32_e32 v23, v24, v22
	v_fma_f32 v20, -v21, v23, v20
	v_div_fmas_f32 v20, v20, v22, v23
	v_div_fixup_f32 v17, v20, v18, v17
	v_mul_f32_e32 v18, v6, v6
	v_mov_b32_e32 v20, 0x3c0881c4
	v_fmamk_f32 v21, v18, 0xb94c1982, v20
	v_fmaak_f32 v21, v18, v21, 0xbe2aaa9d
	v_mul_f32_e32 v21, v18, v21
	v_fmac_f32_e32 v6, v6, v21
	v_mov_b32_e32 v21, 0xbab64f3b
	v_fmamk_f32 v23, v18, 0x37d75334, v21
	v_fmaak_f32 v23, v18, v23, 0x3d2aabf7
	v_fmaak_f32 v23, v18, v23, 0xbf000004
	v_fma_f32 v18, v18, v23, 1.0
	v_and_b32_e32 v23, 1, v5
	v_lshlrev_b32_e32 v5, 30, v5
	v_cmp_eq_u32_e32 vcc, 0, v23
	v_and_b32_e32 v5, 0x80000000, v5
	v_xor_b32_e32 v3, v3, v2
	v_cndmask_b32_e32 v6, v18, v6, vcc
	v_xor_b32_e32 v3, v3, v5
	v_div_scale_f32 v5, s[2:3], v16, v16, v19
	v_xor_b32_e32 v3, v3, v6
	v_rcp_f32_e32 v6, v5
	s_movk_i32 s5, 0x1f8
	v_mov_b32_e32 v18, 0x7fc00000
	v_cmp_class_f32_e64 s[2:3], v2, s5
	v_mov_b32_e32 v22, 0xbe2aaa9d
	v_mov_b32_e32 v24, 0x3d2aabf7
	v_cndmask_b32_e64 v2, v18, v3, s[2:3]
	v_fma_f32 v3, -v5, v6, 1.0
	v_fmac_f32_e32 v6, v3, v6
	v_div_scale_f32 v3, vcc, v19, v16, v19
	v_mul_f32_e32 v23, v3, v6
	v_fma_f32 v26, -v5, v23, v3
	v_fmac_f32_e32 v23, v26, v6
	v_fma_f32 v3, -v5, v23, v3
	v_mul_f32_e32 v5, v15, v15
	v_fmac_f32_e32 v20, 0xb94c1982, v5
	v_fmac_f32_e32 v22, v5, v20
	;; [unrolled: 1-line block ×3, first 2 shown]
	v_mov_b32_e32 v25, 0xbf000004
	v_div_fmas_f32 v3, v3, v6, v23
	v_mul_f32_e32 v6, v5, v22
	v_fmac_f32_e32 v24, v5, v21
	v_fmac_f32_e32 v15, v15, v6
	;; [unrolled: 1-line block ×3, first 2 shown]
	v_and_b32_e32 v6, 1, v14
	v_fma_f32 v5, v5, v25, 1.0
	v_cmp_eq_u32_e32 vcc, 0, v6
	s_brev_b32 s4, 1
	v_lshlrev_b32_e32 v6, 30, v14
	v_cndmask_b32_e64 v5, -v15, v5, vcc
	v_bitop3_b32 v5, v6, v5, s4 bitop3:0x6c
	v_cndmask_b32_e64 v5, v18, v5, s[2:3]
	s_mov_b32 s2, 0xf800000
	v_mul_f32_e32 v6, 0x4f800000, v10
	v_cmp_gt_f32_e32 vcc, s2, v10
	v_div_fixup_f32 v3, v3, v16, v19
	v_mul_f32_e32 v3, v13, v3
	v_cndmask_b32_e32 v6, v10, v6, vcc
	v_sqrt_f32_e32 v10, v6
	v_mul_f32_e32 v3, v3, v5
	v_fmac_f32_e32 v3, v17, v2
	v_mul_f32_e32 v2, 0x3f4c422a, v3
	v_add_u32_e32 v3, -1, v10
	v_fma_f32 v5, -v3, v10, v6
	v_cmp_ge_f32_e64 s[2:3], 0, v5
	v_add_u32_e32 v5, 1, v10
	s_nop 0
	v_cndmask_b32_e64 v3, v10, v3, s[2:3]
	v_fma_f32 v10, -v5, v10, v6
	v_cmp_lt_f32_e64 s[2:3], 0, v10
	s_nop 1
	v_cndmask_b32_e64 v3, v3, v5, s[2:3]
	v_mul_f32_e32 v5, 0x37800000, v3
	v_cndmask_b32_e32 v3, v3, v5, vcc
	v_mov_b32_e32 v5, 0x260
	v_cmp_class_f32_e32 vcc, v6, v5
	s_nop 1
	v_cndmask_b32_e32 v3, v3, v6, vcc
	v_div_scale_f32 v5, s[2:3], v3, v3, v2
	v_rcp_f32_e32 v6, v5
	s_nop 0
	v_fma_f32 v10, -v5, v6, 1.0
	v_fmac_f32_e32 v6, v10, v6
	v_div_scale_f32 v10, vcc, v2, v3, v2
	v_mul_f32_e32 v13, v10, v6
	v_fma_f32 v14, -v5, v13, v10
	v_fmac_f32_e32 v13, v14, v6
	v_fma_f32 v5, -v5, v13, v10
	v_div_fmas_f32 v5, v5, v6, v13
	v_div_fixup_f32 v2, v5, v3, v2
.LBB12_25:
	s_or_b64 exec, exec, s[10:11]
	v_mov_b32_e32 v5, 0
	v_mov_b32_e32 v6, v5
	;; [unrolled: 1-line block ×3, first 2 shown]
.LBB12_26:
	s_or_b64 exec, exec, s[8:9]
	s_waitcnt vmcnt(0) lgkmcnt(0)
	v_add_u32_e32 v10, 0x100, v7
	v_cmp_lt_i32_e32 vcc, v10, v4
	s_and_saveexec_b64 s[8:9], vcc
	s_cbranch_execz .LBB12_44
; %bb.27:
	s_mov_b32 s2, 0x40a00000
	v_cmp_ge_f32_e32 vcc, s2, v12
	s_and_saveexec_b64 s[2:3], vcc
	s_xor_b64 s[4:5], exec, s[2:3]
                                        ; implicit-def: $vgpr5
	s_cbranch_execz .LBB12_33
; %bb.28:
	v_cmp_neq_f32_e32 vcc, 0, v12
	v_mov_b32_e32 v5, 0xff800000
	s_and_saveexec_b64 s[6:7], vcc
	s_cbranch_execz .LBB12_32
; %bb.29:
	v_cmp_nge_f32_e32 vcc, 0, v12
	v_mov_b32_e32 v5, 0x7fc00000
	s_and_saveexec_b64 s[10:11], vcc
	s_cbranch_execz .LBB12_31
; %bb.30:
	v_mul_f32_e32 v14, v12, v12
	v_mov_b32_e32 v5, 0x4414934d
	v_fmac_f32_e32 v5, 0, v14
	v_fmaak_f32 v5, v14, v5, 0x48660b06
	s_mov_b32 s2, 0x4e9695f3
	v_mul_f32_e32 v16, 0, v14
	v_mul_f32_e32 v17, v14, v5
	s_mov_b32 s3, 0x4c8c277d
	v_pk_add_f32 v[18:19], v[16:17], s[2:3]
	s_mov_b32 s2, 0xd316b96b
	s_mov_b32 s3, 0x508bc61d
	v_pk_fma_f32 v[18:19], v[14:15], v[18:19], s[2:3] op_sel_hi:[0,1,1]
	s_mov_b32 s2, 0x56d04aa6
	s_mov_b32 s3, 0x5461faf8
	v_pk_fma_f32 v[18:19], v[14:15], v[18:19], s[2:3] op_sel_hi:[0,1,1]
	;; [unrolled: 3-line block ×5, first 2 shown]
	v_div_scale_f32 v5, s[2:3], v19, v19, v18
	v_rcp_f32_e32 v13, v5
	s_mov_b32 s2, 0xce5691e2
	s_mov_b32 s3, 0x548a37dc
	v_fma_f32 v15, -v5, v13, 1.0
	v_fmac_f32_e32 v13, v15, v13
	v_div_scale_f32 v15, vcc, v18, v19, v18
	v_mul_f32_e32 v20, v15, v13
	v_fma_f32 v17, -v5, v20, v15
	v_fmac_f32_e32 v20, v17, v13
	v_fma_f32 v5, -v5, v20, v15
	v_mov_b32_e32 v15, 0x441b3589
	v_fmac_f32_e32 v15, 0, v14
	v_fmaak_f32 v15, v14, v15, 0x487af6d0
	v_fmaak_f32 v15, v14, v15, 0x4c9f4aa7
	;; [unrolled: 1-line block ×3, first 2 shown]
	v_mul_f32_e32 v17, v14, v15
	v_pk_add_f32 v[16:17], v[16:17], s[2:3]
	s_mov_b32 s2, 0x52d295d0
	s_mov_b32 s3, 0x58325852
	v_pk_fma_f32 v[16:17], v[14:15], v[16:17], s[2:3] op_sel_hi:[0,1,1]
	s_mov_b32 s2, 0xd6845497
	s_mov_b32 s3, 0x5b9f0600
	v_pk_fma_f32 v[16:17], v[14:15], v[16:17], s[2:3] op_sel_hi:[0,1,1]
	;; [unrolled: 3-line block ×3, first 2 shown]
	v_div_scale_f32 v15, s[2:3], v17, v17, v16
	v_rcp_f32_e32 v21, v15
	v_div_fmas_f32 v5, v5, v13, v20
	v_div_fixup_f32 v13, v5, v19, v18
	s_mov_b32 s2, 0xc244dfb3
	v_fma_f32 v5, -v15, v21, 1.0
	v_fmac_f32_e32 v21, v5, v21
	v_div_scale_f32 v5, vcc, v16, v17, v16
	v_mul_f32_e32 v18, v5, v21
	v_fma_f32 v19, -v15, v18, v5
	v_fmac_f32_e32 v18, v19, v21
	s_mov_b32 s3, 0xc16ae95a
	v_fma_f32 v5, -v15, v18, v5
	v_pk_add_f32 v[14:15], v[14:15], s[2:3] op_sel_hi:[0,1]
	s_mov_b32 s2, 0x800000
	v_div_fmas_f32 v5, v5, v21, v18
	v_cmp_gt_f32_e32 vcc, s2, v12
	v_div_fixup_f32 v5, v5, v17, v16
	v_mul_f32_e32 v5, v12, v5
	v_cndmask_b32_e64 v16, 0, 32, vcc
	v_ldexp_f32 v16, v12, v16
	v_log_f32_e32 v16, v16
	v_mul_f32_e32 v5, v15, v5
	v_mul_f32_e32 v5, v14, v5
	s_mov_b32 s2, 0x3f317217
	v_mul_f32_e32 v14, 0x3f317217, v16
	v_fma_f32 v14, v16, s2, -v14
	v_fmamk_f32 v14, v16, 0x3377d1cf, v14
	s_mov_b32 s2, 0x7f800000
	v_fmac_f32_e32 v14, 0x3f317217, v16
	v_cmp_lt_f32_e64 s[2:3], |v16|, s2
	v_mov_b32_e32 v17, 0x41b17218
	v_cndmask_b32_e32 v17, 0, v17, vcc
	v_cndmask_b32_e64 v14, v16, v14, s[2:3]
	v_div_scale_f32 v15, s[2:3], v12, v12, -1.0
	v_rcp_f32_e32 v16, v15
	v_sub_f32_e32 v14, v14, v17
	v_fma_f32 v17, -v15, v16, 1.0
	v_fmac_f32_e32 v16, v17, v16
	v_div_scale_f32 v17, vcc, -1.0, v12, -1.0
	v_mul_f32_e32 v18, v17, v16
	v_fma_f32 v19, -v15, v18, v17
	v_fmac_f32_e32 v18, v19, v16
	v_fma_f32 v15, -v15, v18, v17
	v_div_fmas_f32 v15, v15, v16, v18
	v_div_fixup_f32 v15, v15, v12, -1.0
	v_fmac_f32_e32 v15, v14, v5
	v_mul_f32_e32 v5, 0x3f22f983, v15
	v_fmac_f32_e32 v5, v12, v13
.LBB12_31:
	s_or_b64 exec, exec, s[10:11]
.LBB12_32:
	s_or_b64 exec, exec, s[6:7]
                                        ; implicit-def: $vgpr12
.LBB12_33:
	s_andn2_saveexec_b64 s[10:11], s[4:5]
	s_cbranch_execz .LBB12_43
; %bb.34:
	v_add_f32_e32 v5, 0xc016cbe4, v12
	v_and_b32_e32 v13, 0x7fffffff, v5
	s_brev_b32 s2, 18
	v_cmp_nlt_f32_e64 s[12:13], |v5|, s2
	v_lshrrev_b32_e32 v16, 23, v13
                                        ; implicit-def: $vgpr14
                                        ; implicit-def: $vgpr15
	s_and_saveexec_b64 s[2:3], s[12:13]
	s_xor_b64 s[14:15], exec, s[2:3]
	s_cbranch_execz .LBB12_36
; %bb.35:
	v_add_u32_e32 v14, 0xffffff88, v16
	v_not_b32_e32 v15, 63
	v_cmp_lt_u32_e32 vcc, 63, v14
	s_mov_b32 s6, 0xfe5163ab
	v_mov_b32_e32 v19, 0
	v_cndmask_b32_e32 v15, 0, v15, vcc
	v_add_u32_e32 v14, v15, v14
	v_not_b32_e32 v15, 31
	v_cmp_lt_u32_e64 s[2:3], 31, v14
	s_nop 1
	v_cndmask_b32_e64 v17, 0, v15, s[2:3]
	v_add_u32_e32 v14, v17, v14
	v_cmp_lt_u32_e64 s[4:5], 31, v14
	s_nop 1
	v_cndmask_b32_e64 v15, 0, v15, s[4:5]
	v_add_u32_e32 v17, v15, v14
	v_and_b32_e32 v14, 0x7fffff, v13
	v_or_b32_e32 v30, 0x800000, v14
	v_mad_u64_u32 v[14:15], s[6:7], v30, s6, 0
	v_mov_b32_e32 v18, v15
	s_mov_b32 s6, 0x3c439041
	v_mad_u64_u32 v[20:21], s[6:7], v30, s6, v[18:19]
	v_mov_b32_e32 v18, v21
	s_mov_b32 s6, 0xdb629599
	;; [unrolled: 3-line block ×6, first 2 shown]
	v_mad_u64_u32 v[18:19], s[6:7], v30, s6, v[18:19]
	v_cndmask_b32_e32 v15, v28, v24, vcc
	v_cndmask_b32_e32 v18, v18, v26, vcc
	;; [unrolled: 1-line block ×3, first 2 shown]
	v_cndmask_b32_e64 v21, v18, v15, s[2:3]
	v_cndmask_b32_e64 v18, v19, v18, s[2:3]
	v_cndmask_b32_e32 v19, v26, v22, vcc
	v_cndmask_b32_e64 v15, v15, v19, s[2:3]
	v_cndmask_b32_e64 v18, v18, v21, s[4:5]
	;; [unrolled: 1-line block ×3, first 2 shown]
	v_sub_u32_e32 v23, 32, v17
	v_alignbit_b32 v25, v18, v21, v23
	v_cmp_eq_u32_e64 s[6:7], 0, v17
	v_cndmask_b32_e32 v14, v22, v14, vcc
	s_nop 0
	v_cndmask_b32_e64 v17, v25, v18, s[6:7]
	v_cndmask_b32_e32 v18, v24, v20, vcc
	v_cndmask_b32_e64 v19, v19, v18, s[2:3]
	v_cndmask_b32_e64 v15, v15, v19, s[4:5]
	v_alignbit_b32 v20, v21, v15, v23
	v_cndmask_b32_e64 v20, v20, v21, s[6:7]
	v_bfe_u32 v25, v17, 29, 1
	v_cndmask_b32_e64 v14, v18, v14, s[2:3]
	v_alignbit_b32 v21, v17, v20, 30
	v_sub_u32_e32 v26, 0, v25
	v_cndmask_b32_e64 v14, v19, v14, s[4:5]
	v_xor_b32_e32 v21, v21, v26
	v_alignbit_b32 v18, v15, v14, v23
	v_cndmask_b32_e64 v15, v18, v15, s[6:7]
	v_ffbh_u32_e32 v19, v21
	v_alignbit_b32 v18, v20, v15, 30
	v_min_u32_e32 v19, 32, v19
	v_alignbit_b32 v14, v15, v14, 30
	v_xor_b32_e32 v18, v18, v26
	v_sub_u32_e32 v20, 31, v19
	v_xor_b32_e32 v14, v14, v26
	v_alignbit_b32 v21, v21, v18, v20
	v_alignbit_b32 v14, v18, v14, v20
	;; [unrolled: 1-line block ×3, first 2 shown]
	v_ffbh_u32_e32 v18, v15
	v_min_u32_e32 v18, 32, v18
	v_lshrrev_b32_e32 v24, 29, v17
	v_not_b32_e32 v20, v18
	v_alignbit_b32 v14, v15, v14, v20
	v_lshlrev_b32_e32 v15, 31, v24
	v_or_b32_e32 v20, 0x33000000, v15
	v_add_lshl_u32 v18, v18, v19, 23
	v_lshrrev_b32_e32 v14, 9, v14
	v_sub_u32_e32 v18, v20, v18
	v_or_b32_e32 v15, 0.5, v15
	v_lshlrev_b32_e32 v19, 23, v19
	v_or_b32_e32 v14, v18, v14
	v_lshrrev_b32_e32 v18, 9, v21
	v_sub_u32_e32 v15, v15, v19
	v_or_b32_e32 v15, v18, v15
	s_mov_b32 s2, 0x3fc90fda
	v_mul_f32_e32 v18, 0x3fc90fda, v15
	v_fma_f32 v19, v15, s2, -v18
	v_fmamk_f32 v15, v15, 0x33a22168, v19
	v_fmac_f32_e32 v15, 0x3fc90fda, v14
	v_lshrrev_b32_e32 v14, 30, v17
	v_add_f32_e32 v15, v18, v15
	v_add_u32_e32 v14, v25, v14
	s_andn2_saveexec_b64 s[2:3], s[14:15]
	s_cbranch_execz .LBB12_38
	s_branch .LBB12_37
.LBB12_36:
	s_andn2_saveexec_b64 s[2:3], s[14:15]
	s_cbranch_execz .LBB12_38
.LBB12_37:
	s_mov_b32 s4, 0x3f22f983
	v_mul_f32_e64 v14, |v5|, s4
	v_rndne_f32_e32 v15, v14
	s_mov_b32 s4, 0xbfc90fda
	v_cvt_i32_f32_e32 v14, v15
	v_fma_f32 v17, v15, s4, |v5|
	v_fmamk_f32 v17, v15, 0xb3a22168, v17
	v_fmamk_f32 v15, v15, 0xa7c234c4, v17
.LBB12_38:
	s_or_b64 exec, exec, s[2:3]
                                        ; implicit-def: $vgpr17
                                        ; implicit-def: $vgpr18
	s_and_saveexec_b64 s[2:3], s[12:13]
	s_xor_b64 s[12:13], exec, s[2:3]
	s_cbranch_execz .LBB12_40
; %bb.39:
	v_add_u32_e32 v16, 0xffffff88, v16
	v_not_b32_e32 v17, 63
	v_cmp_lt_u32_e32 vcc, 63, v16
	s_mov_b32 s6, 0xfe5163ab
	v_mov_b32_e32 v19, 0
	v_cndmask_b32_e32 v17, 0, v17, vcc
	v_add_u32_e32 v16, v17, v16
	v_not_b32_e32 v17, 31
	v_cmp_lt_u32_e64 s[2:3], 31, v16
	s_nop 1
	v_cndmask_b32_e64 v18, 0, v17, s[2:3]
	v_add_u32_e32 v16, v18, v16
	v_cmp_lt_u32_e64 s[4:5], 31, v16
	s_nop 1
	v_cndmask_b32_e64 v17, 0, v17, s[4:5]
	v_add_u32_e32 v30, v17, v16
	v_and_b32_e32 v16, 0x7fffff, v13
	v_or_b32_e32 v31, 0x800000, v16
	v_mad_u64_u32 v[16:17], s[6:7], v31, s6, 0
	v_mov_b32_e32 v18, v17
	s_mov_b32 s6, 0x3c439041
	v_mad_u64_u32 v[20:21], s[6:7], v31, s6, v[18:19]
	v_mov_b32_e32 v18, v21
	s_mov_b32 s6, 0xdb629599
	;; [unrolled: 3-line block ×6, first 2 shown]
	v_mad_u64_u32 v[18:19], s[6:7], v31, s6, v[18:19]
	v_cndmask_b32_e32 v17, v28, v24, vcc
	v_cndmask_b32_e32 v18, v18, v26, vcc
	;; [unrolled: 1-line block ×3, first 2 shown]
	v_cndmask_b32_e64 v21, v18, v17, s[2:3]
	v_cndmask_b32_e64 v18, v19, v18, s[2:3]
	v_cndmask_b32_e32 v19, v26, v22, vcc
	v_cndmask_b32_e64 v17, v17, v19, s[2:3]
	v_cndmask_b32_e64 v18, v18, v21, s[4:5]
	;; [unrolled: 1-line block ×3, first 2 shown]
	v_sub_u32_e32 v23, 32, v30
	v_alignbit_b32 v25, v18, v21, v23
	v_cmp_eq_u32_e64 s[6:7], 0, v30
	v_cndmask_b32_e32 v16, v22, v16, vcc
	s_nop 0
	v_cndmask_b32_e64 v25, v25, v18, s[6:7]
	v_cndmask_b32_e32 v18, v24, v20, vcc
	v_cndmask_b32_e64 v19, v19, v18, s[2:3]
	v_cndmask_b32_e64 v17, v17, v19, s[4:5]
	v_alignbit_b32 v20, v21, v17, v23
	v_cndmask_b32_e64 v20, v20, v21, s[6:7]
	v_bfe_u32 v26, v25, 29, 1
	v_cndmask_b32_e64 v16, v18, v16, s[2:3]
	v_alignbit_b32 v21, v25, v20, 30
	v_sub_u32_e32 v27, 0, v26
	v_cndmask_b32_e64 v16, v19, v16, s[4:5]
	v_xor_b32_e32 v21, v21, v27
	v_alignbit_b32 v18, v17, v16, v23
	v_cndmask_b32_e64 v17, v18, v17, s[6:7]
	v_ffbh_u32_e32 v19, v21
	v_alignbit_b32 v18, v20, v17, 30
	v_min_u32_e32 v19, 32, v19
	v_alignbit_b32 v16, v17, v16, 30
	v_xor_b32_e32 v18, v18, v27
	v_sub_u32_e32 v20, 31, v19
	v_xor_b32_e32 v16, v16, v27
	v_alignbit_b32 v21, v21, v18, v20
	v_alignbit_b32 v16, v18, v16, v20
	;; [unrolled: 1-line block ×3, first 2 shown]
	v_ffbh_u32_e32 v18, v17
	v_min_u32_e32 v18, 32, v18
	v_lshrrev_b32_e32 v24, 29, v25
	v_not_b32_e32 v20, v18
	v_alignbit_b32 v16, v17, v16, v20
	v_lshlrev_b32_e32 v17, 31, v24
	v_or_b32_e32 v20, 0x33000000, v17
	v_add_lshl_u32 v18, v18, v19, 23
	v_lshrrev_b32_e32 v16, 9, v16
	v_sub_u32_e32 v18, v20, v18
	v_or_b32_e32 v17, 0.5, v17
	v_lshlrev_b32_e32 v19, 23, v19
	v_or_b32_e32 v16, v18, v16
	v_lshrrev_b32_e32 v18, 9, v21
	v_sub_u32_e32 v17, v17, v19
	v_or_b32_e32 v17, v18, v17
	s_mov_b32 s2, 0x3fc90fda
	v_mul_f32_e32 v18, 0x3fc90fda, v17
	v_fma_f32 v19, v17, s2, -v18
	v_fmamk_f32 v17, v17, 0x33a22168, v19
	v_fmac_f32_e32 v17, 0x3fc90fda, v16
	v_lshrrev_b32_e32 v16, 30, v25
	v_add_f32_e32 v18, v18, v17
	v_add_u32_e32 v17, v26, v16
	s_andn2_saveexec_b64 s[2:3], s[12:13]
	s_cbranch_execnz .LBB12_41
	s_branch .LBB12_42
.LBB12_40:
	s_andn2_saveexec_b64 s[2:3], s[12:13]
	s_cbranch_execz .LBB12_42
.LBB12_41:
	s_mov_b32 s4, 0x3f22f983
	v_mul_f32_e64 v16, |v5|, s4
	v_rndne_f32_e32 v16, v16
	s_mov_b32 s4, 0xbfc90fda
	v_cvt_i32_f32_e32 v17, v16
	v_fma_f32 v18, v16, s4, |v5|
	v_fmamk_f32 v18, v16, 0xb3a22168, v18
	v_fmamk_f32 v18, v16, 0xa7c234c4, v18
.LBB12_42:
	s_or_b64 exec, exec, s[2:3]
	s_mov_b32 s4, 0x40a00000
	v_div_scale_f32 v16, s[2:3], v12, v12, s4
	v_rcp_f32_e32 v19, v16
	v_div_scale_f32 v20, vcc, s4, v12, s4
	v_mov_b32_e32 v23, 0x42947983
	v_fma_f32 v21, -v16, v19, 1.0
	v_fmac_f32_e32 v19, v21, v19
	v_mul_f32_e32 v21, v20, v19
	v_fma_f32 v22, -v16, v21, v20
	v_fmac_f32_e32 v21, v22, v19
	v_fma_f32 v16, -v16, v21, v20
	v_div_fmas_f32 v16, v16, v19, v21
	v_div_fixup_f32 v16, v16, v12, s4
	v_mul_f32_e32 v19, v16, v16
	v_mov_b32_e32 v20, 0x3a47c962
	v_mov_b32_e32 v21, 0x3a15c4d9
	v_fmac_f32_e32 v20, 0, v19
	v_fmac_f32_e32 v21, 0, v19
	v_fmaak_f32 v20, v19, v20, 0x3d95ca45
	v_fmaak_f32 v21, v19, v21, 0x3d8cfeeb
	;; [unrolled: 1-line block ×8, first 2 shown]
	v_mov_b32_e32 v22, 0x3d513fd3
	v_fmaak_f32 v20, v19, v20, 0x40a6dd51
	v_fmaak_f32 v21, v19, v21, 0x40a6b6ea
	v_fmac_f32_e32 v22, 0, v19
	v_fma_f32 v21, v19, v21, 1.0
	v_fmaak_f32 v22, v19, v22, 0x409f6dae
	v_fmac_f32_e32 v23, 0, v19
	v_fma_f32 v20, v19, v20, 1.0
	v_fmaak_f32 v22, v19, v22, 0x4297a5cd
	v_fmaak_f32 v23, v19, v23, 0x44840e5d
	v_div_scale_f32 v24, s[2:3], v21, v21, v20
	v_fmaak_f32 v22, v19, v22, 0x43b763ca
	v_fmaak_f32 v23, v19, v23, 0x459bd349
	v_rcp_f32_e32 v25, v24
	v_fmaak_f32 v22, v19, v22, 0x4431b6ce
	v_fmaak_f32 v23, v19, v23, 0x46156947
	v_fmaak_f32 v22, v19, v22, 0x44155f56
	v_fmaak_f32 v23, v19, v23, 0x45f9e855
	v_fmaak_f32 v22, v19, v22, 0x4353b052
	v_fmaak_f32 v23, v19, v23, 0x4530a316
	v_fmaak_f32 v22, v19, v22, 0x41c9a7fa
	v_fmaak_f32 v19, v19, v23, 0x43a80bfb
	v_fma_f32 v23, -v24, v25, 1.0
	v_fmac_f32_e32 v25, v23, v25
	v_div_scale_f32 v23, vcc, v20, v21, v20
	v_mul_f32_e32 v26, v23, v25
	v_fma_f32 v27, -v24, v26, v23
	v_fmac_f32_e32 v26, v27, v25
	v_fma_f32 v23, -v24, v26, v23
	v_div_fmas_f32 v23, v23, v25, v26
	v_div_fixup_f32 v20, v23, v21, v20
	v_mul_f32_e32 v21, v15, v15
	v_mov_b32_e32 v23, 0x3c0881c4
	v_fmamk_f32 v24, v21, 0xb94c1982, v23
	v_fmaak_f32 v24, v21, v24, 0xbe2aaa9d
	v_mul_f32_e32 v24, v21, v24
	v_fmac_f32_e32 v15, v15, v24
	v_mov_b32_e32 v24, 0xbab64f3b
	v_fmamk_f32 v26, v21, 0x37d75334, v24
	v_fmaak_f32 v26, v21, v26, 0x3d2aabf7
	v_fmaak_f32 v26, v21, v26, 0xbf000004
	v_fma_f32 v21, v21, v26, 1.0
	v_and_b32_e32 v26, 1, v14
	v_lshlrev_b32_e32 v14, 30, v14
	v_cmp_eq_u32_e32 vcc, 0, v26
	v_and_b32_e32 v14, 0x80000000, v14
	v_xor_b32_e32 v13, v13, v5
	v_cndmask_b32_e32 v15, v21, v15, vcc
	v_xor_b32_e32 v13, v13, v14
	v_div_scale_f32 v14, s[2:3], v19, v19, v22
	v_xor_b32_e32 v13, v13, v15
	v_rcp_f32_e32 v15, v14
	s_movk_i32 s5, 0x1f8
	v_mov_b32_e32 v21, 0x7fc00000
	v_cmp_class_f32_e64 s[2:3], v5, s5
	v_mov_b32_e32 v25, 0xbe2aaa9d
	v_mov_b32_e32 v27, 0x3d2aabf7
	v_cndmask_b32_e64 v5, v21, v13, s[2:3]
	v_fma_f32 v13, -v14, v15, 1.0
	v_fmac_f32_e32 v15, v13, v15
	v_div_scale_f32 v13, vcc, v22, v19, v22
	v_mul_f32_e32 v26, v13, v15
	v_fma_f32 v29, -v14, v26, v13
	v_fmac_f32_e32 v26, v29, v15
	v_fma_f32 v13, -v14, v26, v13
	v_mul_f32_e32 v14, v18, v18
	v_fmac_f32_e32 v23, 0xb94c1982, v14
	v_fmac_f32_e32 v25, v14, v23
	;; [unrolled: 1-line block ×3, first 2 shown]
	v_mov_b32_e32 v28, 0xbf000004
	v_div_fmas_f32 v13, v13, v15, v26
	v_mul_f32_e32 v15, v14, v25
	v_fmac_f32_e32 v27, v14, v24
	v_fmac_f32_e32 v18, v18, v15
	;; [unrolled: 1-line block ×3, first 2 shown]
	v_and_b32_e32 v15, 1, v17
	v_fma_f32 v14, v14, v28, 1.0
	v_cmp_eq_u32_e32 vcc, 0, v15
	s_brev_b32 s4, 1
	v_lshlrev_b32_e32 v15, 30, v17
	v_cndmask_b32_e64 v14, -v18, v14, vcc
	v_bitop3_b32 v14, v15, v14, s4 bitop3:0x6c
	v_cndmask_b32_e64 v14, v21, v14, s[2:3]
	s_mov_b32 s2, 0xf800000
	v_mul_f32_e32 v15, 0x4f800000, v12
	v_cmp_gt_f32_e32 vcc, s2, v12
	v_div_fixup_f32 v13, v13, v19, v22
	v_mul_f32_e32 v13, v16, v13
	v_cndmask_b32_e32 v12, v12, v15, vcc
	v_sqrt_f32_e32 v15, v12
	v_mul_f32_e32 v13, v13, v14
	v_fmac_f32_e32 v13, v20, v5
	v_mul_f32_e32 v5, 0x3f4c422a, v13
	v_add_u32_e32 v13, -1, v15
	v_fma_f32 v14, -v13, v15, v12
	v_cmp_ge_f32_e64 s[2:3], 0, v14
	v_add_u32_e32 v14, 1, v15
	s_nop 0
	v_cndmask_b32_e64 v13, v15, v13, s[2:3]
	v_fma_f32 v15, -v14, v15, v12
	v_cmp_lt_f32_e64 s[2:3], 0, v15
	s_nop 1
	v_cndmask_b32_e64 v13, v13, v14, s[2:3]
	v_mul_f32_e32 v14, 0x37800000, v13
	v_cndmask_b32_e32 v13, v13, v14, vcc
	v_mov_b32_e32 v14, 0x260
	v_cmp_class_f32_e32 vcc, v12, v14
	s_nop 1
	v_cndmask_b32_e32 v12, v13, v12, vcc
	v_div_scale_f32 v13, s[2:3], v12, v12, v5
	v_rcp_f32_e32 v14, v13
	s_nop 0
	v_fma_f32 v15, -v13, v14, 1.0
	v_fmac_f32_e32 v14, v15, v14
	v_div_scale_f32 v15, vcc, v5, v12, v5
	v_mul_f32_e32 v16, v15, v14
	v_fma_f32 v17, -v13, v16, v15
	v_fmac_f32_e32 v16, v17, v14
	v_fma_f32 v13, -v13, v16, v15
	v_div_fmas_f32 v13, v13, v14, v16
	v_div_fixup_f32 v5, v13, v12, v5
.LBB12_43:
	s_or_b64 exec, exec, s[10:11]
.LBB12_44:
	s_or_b64 exec, exec, s[8:9]
	v_add_u32_e32 v12, 0x200, v7
	v_cmp_lt_i32_e32 vcc, v12, v4
	s_and_saveexec_b64 s[8:9], vcc
	s_cbranch_execz .LBB12_62
; %bb.45:
	s_mov_b32 s2, 0x40a00000
	v_cmp_ge_f32_e32 vcc, s2, v11
	s_and_saveexec_b64 s[2:3], vcc
	s_xor_b64 s[4:5], exec, s[2:3]
                                        ; implicit-def: $vgpr6
	s_cbranch_execz .LBB12_51
; %bb.46:
	v_cmp_neq_f32_e32 vcc, 0, v11
	v_mov_b32_e32 v6, 0xff800000
	s_and_saveexec_b64 s[6:7], vcc
	s_cbranch_execz .LBB12_50
; %bb.47:
	v_cmp_nge_f32_e32 vcc, 0, v11
	v_mov_b32_e32 v6, 0x7fc00000
	s_and_saveexec_b64 s[10:11], vcc
	s_cbranch_execz .LBB12_49
; %bb.48:
	v_mul_f32_e32 v6, v11, v11
	v_mov_b32_e32 v13, 0x4414934d
	v_fmac_f32_e32 v13, 0, v6
	v_fmaak_f32 v13, v6, v13, 0x48660b06
	s_mov_b32 s2, 0x4e9695f3
	v_mul_f32_e32 v12, 0, v6
	v_mul_f32_e32 v13, v6, v13
	s_mov_b32 s3, 0x4c8c277d
	v_pk_add_f32 v[14:15], v[12:13], s[2:3]
	s_mov_b32 s2, 0xd316b96b
	s_mov_b32 s3, 0x508bc61d
	v_pk_fma_f32 v[14:15], v[6:7], v[14:15], s[2:3] op_sel_hi:[0,1,1]
	s_mov_b32 s2, 0x56d04aa6
	s_mov_b32 s3, 0x5461faf8
	v_pk_fma_f32 v[14:15], v[6:7], v[14:15], s[2:3] op_sel_hi:[0,1,1]
	;; [unrolled: 3-line block ×5, first 2 shown]
	v_div_scale_f32 v13, s[2:3], v15, v15, v14
	v_rcp_f32_e32 v16, v13
	s_mov_b32 s2, 0xce5691e2
	s_mov_b32 s3, 0x548a37dc
	v_fma_f32 v17, -v13, v16, 1.0
	v_fmac_f32_e32 v16, v17, v16
	v_div_scale_f32 v17, vcc, v14, v15, v14
	v_mul_f32_e32 v18, v17, v16
	v_fma_f32 v19, -v13, v18, v17
	v_fmac_f32_e32 v18, v19, v16
	v_fma_f32 v17, -v13, v18, v17
	v_mov_b32_e32 v13, 0x441b3589
	v_fmac_f32_e32 v13, 0, v6
	v_fmaak_f32 v13, v6, v13, 0x487af6d0
	v_fmaak_f32 v13, v6, v13, 0x4c9f4aa7
	;; [unrolled: 1-line block ×3, first 2 shown]
	v_mul_f32_e32 v13, v6, v13
	v_pk_add_f32 v[12:13], v[12:13], s[2:3]
	s_mov_b32 s2, 0x52d295d0
	s_mov_b32 s3, 0x58325852
	v_pk_fma_f32 v[12:13], v[6:7], v[12:13], s[2:3] op_sel_hi:[0,1,1]
	s_mov_b32 s2, 0xd6845497
	s_mov_b32 s3, 0x5b9f0600
	v_pk_fma_f32 v[12:13], v[6:7], v[12:13], s[2:3] op_sel_hi:[0,1,1]
	;; [unrolled: 3-line block ×3, first 2 shown]
	v_div_scale_f32 v19, s[2:3], v13, v13, v12
	v_rcp_f32_e32 v20, v19
	v_div_fmas_f32 v16, v17, v16, v18
	v_div_fixup_f32 v14, v16, v15, v14
	s_mov_b32 s2, 0xc244dfb3
	v_fma_f32 v15, -v19, v20, 1.0
	v_fmac_f32_e32 v20, v15, v20
	v_div_scale_f32 v15, vcc, v12, v13, v12
	v_mul_f32_e32 v16, v15, v20
	v_fma_f32 v17, -v19, v16, v15
	v_fmac_f32_e32 v16, v17, v20
	v_fma_f32 v15, -v19, v16, v15
	v_div_fmas_f32 v15, v15, v20, v16
	v_div_fixup_f32 v12, v15, v13, v12
	s_mov_b32 s3, 0xc16ae95a
	v_mul_f32_e32 v15, v11, v12
	v_pk_add_f32 v[12:13], v[6:7], s[2:3] op_sel_hi:[0,1]
	s_mov_b32 s2, 0x800000
	v_cmp_gt_f32_e32 vcc, s2, v11
	v_mul_f32_e32 v13, v13, v15
	v_mul_f32_e32 v12, v12, v13
	v_cndmask_b32_e64 v6, 0, 32, vcc
	v_ldexp_f32 v6, v11, v6
	v_log_f32_e32 v6, v6
	s_mov_b32 s2, 0x3f317217
	v_mov_b32_e32 v16, 0x41b17218
	v_cndmask_b32_e32 v16, 0, v16, vcc
	v_mul_f32_e32 v13, 0x3f317217, v6
	v_fma_f32 v13, v6, s2, -v13
	v_fmamk_f32 v13, v6, 0x3377d1cf, v13
	s_mov_b32 s2, 0x7f800000
	v_fmac_f32_e32 v13, 0x3f317217, v6
	v_cmp_lt_f32_e64 s[2:3], |v6|, s2
	s_nop 1
	v_cndmask_b32_e64 v6, v6, v13, s[2:3]
	v_div_scale_f32 v13, s[2:3], v11, v11, -1.0
	v_rcp_f32_e32 v15, v13
	v_sub_f32_e32 v6, v6, v16
	v_fma_f32 v16, -v13, v15, 1.0
	v_fmac_f32_e32 v15, v16, v15
	v_div_scale_f32 v16, vcc, -1.0, v11, -1.0
	v_mul_f32_e32 v17, v16, v15
	v_fma_f32 v18, -v13, v17, v16
	v_fmac_f32_e32 v17, v18, v15
	v_fma_f32 v13, -v13, v17, v16
	v_div_fmas_f32 v13, v13, v15, v17
	v_div_fixup_f32 v13, v13, v11, -1.0
	v_fmac_f32_e32 v13, v6, v12
	v_mul_f32_e32 v6, 0x3f22f983, v13
	v_fmac_f32_e32 v6, v11, v14
.LBB12_49:
	s_or_b64 exec, exec, s[10:11]
.LBB12_50:
	s_or_b64 exec, exec, s[6:7]
                                        ; implicit-def: $vgpr11
.LBB12_51:
	s_andn2_saveexec_b64 s[10:11], s[4:5]
	s_cbranch_execz .LBB12_61
; %bb.52:
	v_add_f32_e32 v6, 0xc016cbe4, v11
	v_and_b32_e32 v12, 0x7fffffff, v6
	s_brev_b32 s2, 18
	v_cmp_nlt_f32_e64 s[12:13], |v6|, s2
	v_lshrrev_b32_e32 v15, 23, v12
                                        ; implicit-def: $vgpr13
                                        ; implicit-def: $vgpr14
	s_and_saveexec_b64 s[2:3], s[12:13]
	s_xor_b64 s[14:15], exec, s[2:3]
	s_cbranch_execz .LBB12_54
; %bb.53:
	v_add_u32_e32 v13, 0xffffff88, v15
	v_not_b32_e32 v14, 63
	v_cmp_lt_u32_e32 vcc, 63, v13
	s_mov_b32 s6, 0xfe5163ab
	v_mov_b32_e32 v19, 0
	v_cndmask_b32_e32 v14, 0, v14, vcc
	v_add_u32_e32 v13, v14, v13
	v_not_b32_e32 v14, 31
	v_cmp_lt_u32_e64 s[2:3], 31, v13
	s_nop 1
	v_cndmask_b32_e64 v16, 0, v14, s[2:3]
	v_add_u32_e32 v13, v16, v13
	v_cmp_lt_u32_e64 s[4:5], 31, v13
	s_nop 1
	v_cndmask_b32_e64 v14, 0, v14, s[4:5]
	v_add_u32_e32 v13, v14, v13
	v_and_b32_e32 v14, 0x7fffff, v12
	v_or_b32_e32 v14, 0x800000, v14
	v_mad_u64_u32 v[16:17], s[6:7], v14, s6, 0
	v_mov_b32_e32 v18, v17
	s_mov_b32 s6, 0x3c439041
	v_mad_u64_u32 v[20:21], s[6:7], v14, s6, v[18:19]
	v_mov_b32_e32 v18, v21
	s_mov_b32 s6, 0xdb629599
	;; [unrolled: 3-line block ×6, first 2 shown]
	v_mad_u64_u32 v[18:19], s[6:7], v14, s6, v[18:19]
	v_cndmask_b32_e32 v17, v28, v24, vcc
	v_cndmask_b32_e32 v14, v18, v26, vcc
	;; [unrolled: 1-line block ×3, first 2 shown]
	v_cndmask_b32_e64 v18, v14, v17, s[2:3]
	v_cndmask_b32_e64 v14, v19, v14, s[2:3]
	v_cndmask_b32_e32 v19, v26, v22, vcc
	v_cndmask_b32_e64 v17, v17, v19, s[2:3]
	v_cndmask_b32_e64 v14, v14, v18, s[4:5]
	;; [unrolled: 1-line block ×3, first 2 shown]
	v_sub_u32_e32 v21, 32, v13
	v_alignbit_b32 v23, v14, v18, v21
	v_cmp_eq_u32_e64 s[6:7], 0, v13
	v_cndmask_b32_e32 v16, v22, v16, vcc
	s_nop 0
	v_cndmask_b32_e64 v13, v23, v14, s[6:7]
	v_cndmask_b32_e32 v14, v24, v20, vcc
	v_cndmask_b32_e64 v19, v19, v14, s[2:3]
	v_cndmask_b32_e64 v17, v17, v19, s[4:5]
	v_alignbit_b32 v20, v18, v17, v21
	v_cndmask_b32_e64 v14, v14, v16, s[2:3]
	v_cndmask_b32_e64 v18, v20, v18, s[6:7]
	v_bfe_u32 v24, v13, 29, 1
	v_cndmask_b32_e64 v14, v19, v14, s[4:5]
	v_alignbit_b32 v20, v13, v18, 30
	v_sub_u32_e32 v25, 0, v24
	v_alignbit_b32 v16, v17, v14, v21
	v_xor_b32_e32 v20, v20, v25
	v_cndmask_b32_e64 v16, v16, v17, s[6:7]
	v_alignbit_b32 v17, v18, v16, 30
	v_ffbh_u32_e32 v18, v20
	v_min_u32_e32 v18, 32, v18
	v_alignbit_b32 v14, v16, v14, 30
	v_xor_b32_e32 v17, v17, v25
	v_sub_u32_e32 v19, 31, v18
	v_xor_b32_e32 v14, v14, v25
	v_alignbit_b32 v20, v20, v17, v19
	v_alignbit_b32 v14, v17, v14, v19
	;; [unrolled: 1-line block ×3, first 2 shown]
	v_ffbh_u32_e32 v17, v16
	v_min_u32_e32 v17, 32, v17
	v_lshrrev_b32_e32 v23, 29, v13
	v_not_b32_e32 v19, v17
	v_alignbit_b32 v14, v16, v14, v19
	v_lshlrev_b32_e32 v16, 31, v23
	v_or_b32_e32 v19, 0x33000000, v16
	v_add_lshl_u32 v17, v17, v18, 23
	v_lshrrev_b32_e32 v14, 9, v14
	v_sub_u32_e32 v17, v19, v17
	v_or_b32_e32 v16, 0.5, v16
	v_lshlrev_b32_e32 v18, 23, v18
	v_or_b32_e32 v14, v17, v14
	v_lshrrev_b32_e32 v17, 9, v20
	v_sub_u32_e32 v16, v16, v18
	v_or_b32_e32 v16, v17, v16
	s_mov_b32 s2, 0x3fc90fda
	v_mul_f32_e32 v17, 0x3fc90fda, v16
	v_fma_f32 v18, v16, s2, -v17
	v_fmamk_f32 v16, v16, 0x33a22168, v18
	v_fmac_f32_e32 v16, 0x3fc90fda, v14
	v_lshrrev_b32_e32 v13, 30, v13
	v_add_f32_e32 v14, v17, v16
	v_add_u32_e32 v13, v24, v13
	s_andn2_saveexec_b64 s[2:3], s[14:15]
	s_cbranch_execz .LBB12_56
	s_branch .LBB12_55
.LBB12_54:
	s_andn2_saveexec_b64 s[2:3], s[14:15]
	s_cbranch_execz .LBB12_56
.LBB12_55:
	s_mov_b32 s4, 0x3f22f983
	v_mul_f32_e64 v13, |v6|, s4
	v_rndne_f32_e32 v14, v13
	s_mov_b32 s4, 0xbfc90fda
	v_cvt_i32_f32_e32 v13, v14
	v_fma_f32 v16, v14, s4, |v6|
	v_fmamk_f32 v16, v14, 0xb3a22168, v16
	v_fmamk_f32 v14, v14, 0xa7c234c4, v16
.LBB12_56:
	s_or_b64 exec, exec, s[2:3]
                                        ; implicit-def: $vgpr16
                                        ; implicit-def: $vgpr17
	s_and_saveexec_b64 s[2:3], s[12:13]
	s_xor_b64 s[12:13], exec, s[2:3]
	s_cbranch_execz .LBB12_58
; %bb.57:
	v_add_u32_e32 v15, 0xffffff88, v15
	v_not_b32_e32 v16, 63
	v_cmp_lt_u32_e32 vcc, 63, v15
	s_mov_b32 s6, 0xfe5163ab
	v_mov_b32_e32 v19, 0
	v_cndmask_b32_e32 v16, 0, v16, vcc
	v_add_u32_e32 v15, v16, v15
	v_not_b32_e32 v16, 31
	v_cmp_lt_u32_e64 s[2:3], 31, v15
	s_nop 1
	v_cndmask_b32_e64 v17, 0, v16, s[2:3]
	v_add_u32_e32 v15, v17, v15
	v_cmp_lt_u32_e64 s[4:5], 31, v15
	s_nop 1
	v_cndmask_b32_e64 v16, 0, v16, s[4:5]
	v_add_u32_e32 v15, v16, v15
	v_and_b32_e32 v16, 0x7fffff, v12
	v_or_b32_e32 v30, 0x800000, v16
	v_mad_u64_u32 v[16:17], s[6:7], v30, s6, 0
	v_mov_b32_e32 v18, v17
	s_mov_b32 s6, 0x3c439041
	v_mad_u64_u32 v[20:21], s[6:7], v30, s6, v[18:19]
	v_mov_b32_e32 v18, v21
	s_mov_b32 s6, 0xdb629599
	v_mad_u64_u32 v[22:23], s[6:7], v30, s6, v[18:19]
	v_mov_b32_e32 v18, v23
	s_mov_b32 s6, 0xf534ddc0
	v_mad_u64_u32 v[24:25], s[6:7], v30, s6, v[18:19]
	v_mov_b32_e32 v18, v25
	s_mov_b32 s6, 0xfc2757d1
	v_mad_u64_u32 v[26:27], s[6:7], v30, s6, v[18:19]
	v_mov_b32_e32 v18, v27
	s_mov_b32 s6, 0x4e441529
	v_mad_u64_u32 v[28:29], s[6:7], v30, s6, v[18:19]
	v_mov_b32_e32 v18, v29
	s_mov_b32 s6, 0xa2f9836e
	v_mad_u64_u32 v[18:19], s[6:7], v30, s6, v[18:19]
	v_cndmask_b32_e32 v17, v28, v24, vcc
	v_cndmask_b32_e32 v18, v18, v26, vcc
	;; [unrolled: 1-line block ×3, first 2 shown]
	v_cndmask_b32_e64 v21, v18, v17, s[2:3]
	v_cndmask_b32_e64 v18, v19, v18, s[2:3]
	v_cndmask_b32_e32 v19, v26, v22, vcc
	v_cndmask_b32_e64 v17, v17, v19, s[2:3]
	v_cndmask_b32_e64 v18, v18, v21, s[4:5]
	;; [unrolled: 1-line block ×3, first 2 shown]
	v_sub_u32_e32 v23, 32, v15
	v_alignbit_b32 v25, v18, v21, v23
	v_cmp_eq_u32_e64 s[6:7], 0, v15
	v_cndmask_b32_e32 v16, v22, v16, vcc
	s_nop 0
	v_cndmask_b32_e64 v15, v25, v18, s[6:7]
	v_cndmask_b32_e32 v18, v24, v20, vcc
	v_cndmask_b32_e64 v19, v19, v18, s[2:3]
	v_cndmask_b32_e64 v17, v17, v19, s[4:5]
	v_alignbit_b32 v20, v21, v17, v23
	v_cndmask_b32_e64 v20, v20, v21, s[6:7]
	v_bfe_u32 v25, v15, 29, 1
	v_cndmask_b32_e64 v16, v18, v16, s[2:3]
	v_alignbit_b32 v21, v15, v20, 30
	v_sub_u32_e32 v26, 0, v25
	v_cndmask_b32_e64 v16, v19, v16, s[4:5]
	v_xor_b32_e32 v21, v21, v26
	v_alignbit_b32 v18, v17, v16, v23
	v_cndmask_b32_e64 v17, v18, v17, s[6:7]
	v_ffbh_u32_e32 v19, v21
	v_alignbit_b32 v18, v20, v17, 30
	v_min_u32_e32 v19, 32, v19
	v_alignbit_b32 v16, v17, v16, 30
	v_xor_b32_e32 v18, v18, v26
	v_sub_u32_e32 v20, 31, v19
	v_xor_b32_e32 v16, v16, v26
	v_alignbit_b32 v21, v21, v18, v20
	v_alignbit_b32 v16, v18, v16, v20
	;; [unrolled: 1-line block ×3, first 2 shown]
	v_ffbh_u32_e32 v18, v17
	v_min_u32_e32 v18, 32, v18
	v_lshrrev_b32_e32 v24, 29, v15
	v_not_b32_e32 v20, v18
	v_alignbit_b32 v16, v17, v16, v20
	v_lshlrev_b32_e32 v17, 31, v24
	v_or_b32_e32 v20, 0x33000000, v17
	v_add_lshl_u32 v18, v18, v19, 23
	v_lshrrev_b32_e32 v16, 9, v16
	v_sub_u32_e32 v18, v20, v18
	v_or_b32_e32 v17, 0.5, v17
	v_lshlrev_b32_e32 v19, 23, v19
	v_or_b32_e32 v16, v18, v16
	v_lshrrev_b32_e32 v18, 9, v21
	v_sub_u32_e32 v17, v17, v19
	v_or_b32_e32 v17, v18, v17
	s_mov_b32 s2, 0x3fc90fda
	v_mul_f32_e32 v18, 0x3fc90fda, v17
	v_fma_f32 v19, v17, s2, -v18
	v_fmamk_f32 v17, v17, 0x33a22168, v19
	v_fmac_f32_e32 v17, 0x3fc90fda, v16
	v_lshrrev_b32_e32 v15, 30, v15
	v_add_f32_e32 v17, v18, v17
	v_add_u32_e32 v16, v25, v15
	s_andn2_saveexec_b64 s[2:3], s[12:13]
	s_cbranch_execnz .LBB12_59
	s_branch .LBB12_60
.LBB12_58:
	s_andn2_saveexec_b64 s[2:3], s[12:13]
	s_cbranch_execz .LBB12_60
.LBB12_59:
	s_mov_b32 s4, 0x3f22f983
	v_mul_f32_e64 v15, |v6|, s4
	v_rndne_f32_e32 v15, v15
	s_mov_b32 s4, 0xbfc90fda
	v_cvt_i32_f32_e32 v16, v15
	v_fma_f32 v17, v15, s4, |v6|
	v_fmamk_f32 v17, v15, 0xb3a22168, v17
	v_fmamk_f32 v17, v15, 0xa7c234c4, v17
.LBB12_60:
	s_or_b64 exec, exec, s[2:3]
	s_mov_b32 s4, 0x40a00000
	v_div_scale_f32 v15, s[2:3], v11, v11, s4
	v_rcp_f32_e32 v18, v15
	v_div_scale_f32 v19, vcc, s4, v11, s4
	v_mov_b32_e32 v22, 0x42947983
	v_fma_f32 v20, -v15, v18, 1.0
	v_fmac_f32_e32 v18, v20, v18
	v_mul_f32_e32 v20, v19, v18
	v_fma_f32 v21, -v15, v20, v19
	v_fmac_f32_e32 v20, v21, v18
	v_fma_f32 v15, -v15, v20, v19
	v_div_fmas_f32 v15, v15, v18, v20
	v_div_fixup_f32 v15, v15, v11, s4
	v_mul_f32_e32 v18, v15, v15
	v_mov_b32_e32 v19, 0x3a47c962
	v_mov_b32_e32 v20, 0x3a15c4d9
	v_fmac_f32_e32 v19, 0, v18
	v_fmac_f32_e32 v20, 0, v18
	v_fmaak_f32 v19, v18, v19, 0x3d95ca45
	v_fmaak_f32 v20, v18, v20, 0x3d8cfeeb
	;; [unrolled: 1-line block ×8, first 2 shown]
	v_mov_b32_e32 v21, 0x3d513fd3
	v_fmaak_f32 v19, v18, v19, 0x40a6dd51
	v_fmaak_f32 v20, v18, v20, 0x40a6b6ea
	v_fmac_f32_e32 v21, 0, v18
	v_fma_f32 v20, v18, v20, 1.0
	v_fmaak_f32 v21, v18, v21, 0x409f6dae
	v_fmac_f32_e32 v22, 0, v18
	v_fma_f32 v19, v18, v19, 1.0
	v_fmaak_f32 v21, v18, v21, 0x4297a5cd
	v_fmaak_f32 v22, v18, v22, 0x44840e5d
	v_div_scale_f32 v23, s[2:3], v20, v20, v19
	v_fmaak_f32 v21, v18, v21, 0x43b763ca
	v_fmaak_f32 v22, v18, v22, 0x459bd349
	v_rcp_f32_e32 v24, v23
	v_fmaak_f32 v21, v18, v21, 0x4431b6ce
	v_fmaak_f32 v22, v18, v22, 0x46156947
	;; [unrolled: 1-line block ×8, first 2 shown]
	v_fma_f32 v22, -v23, v24, 1.0
	v_fmac_f32_e32 v24, v22, v24
	v_div_scale_f32 v22, vcc, v19, v20, v19
	v_mul_f32_e32 v25, v22, v24
	v_fma_f32 v26, -v23, v25, v22
	v_fmac_f32_e32 v25, v26, v24
	v_fma_f32 v22, -v23, v25, v22
	v_div_fmas_f32 v22, v22, v24, v25
	v_div_fixup_f32 v19, v22, v20, v19
	v_mul_f32_e32 v20, v14, v14
	v_mov_b32_e32 v22, 0x3c0881c4
	v_fmamk_f32 v23, v20, 0xb94c1982, v22
	v_fmaak_f32 v23, v20, v23, 0xbe2aaa9d
	v_mul_f32_e32 v23, v20, v23
	v_fmac_f32_e32 v14, v14, v23
	v_mov_b32_e32 v23, 0xbab64f3b
	v_fmamk_f32 v25, v20, 0x37d75334, v23
	v_fmaak_f32 v25, v20, v25, 0x3d2aabf7
	v_fmaak_f32 v25, v20, v25, 0xbf000004
	v_fma_f32 v20, v20, v25, 1.0
	v_and_b32_e32 v25, 1, v13
	v_lshlrev_b32_e32 v13, 30, v13
	v_cmp_eq_u32_e32 vcc, 0, v25
	v_and_b32_e32 v13, 0x80000000, v13
	v_xor_b32_e32 v12, v12, v6
	v_cndmask_b32_e32 v14, v20, v14, vcc
	v_xor_b32_e32 v12, v12, v13
	v_div_scale_f32 v13, s[2:3], v18, v18, v21
	v_xor_b32_e32 v12, v12, v14
	v_rcp_f32_e32 v14, v13
	s_movk_i32 s5, 0x1f8
	v_mov_b32_e32 v20, 0x7fc00000
	v_cmp_class_f32_e64 s[2:3], v6, s5
	v_mov_b32_e32 v24, 0xbe2aaa9d
	v_mov_b32_e32 v26, 0x3d2aabf7
	v_cndmask_b32_e64 v6, v20, v12, s[2:3]
	v_fma_f32 v12, -v13, v14, 1.0
	v_fmac_f32_e32 v14, v12, v14
	v_div_scale_f32 v12, vcc, v21, v18, v21
	v_mul_f32_e32 v25, v12, v14
	v_fma_f32 v28, -v13, v25, v12
	v_fmac_f32_e32 v25, v28, v14
	v_fma_f32 v12, -v13, v25, v12
	v_mul_f32_e32 v13, v17, v17
	v_fmac_f32_e32 v22, 0xb94c1982, v13
	v_fmac_f32_e32 v24, v13, v22
	;; [unrolled: 1-line block ×3, first 2 shown]
	v_mov_b32_e32 v27, 0xbf000004
	v_div_fmas_f32 v12, v12, v14, v25
	v_mul_f32_e32 v14, v13, v24
	v_fmac_f32_e32 v26, v13, v23
	v_fmac_f32_e32 v17, v17, v14
	;; [unrolled: 1-line block ×3, first 2 shown]
	v_and_b32_e32 v14, 1, v16
	v_fma_f32 v13, v13, v27, 1.0
	v_cmp_eq_u32_e32 vcc, 0, v14
	s_brev_b32 s4, 1
	v_lshlrev_b32_e32 v14, 30, v16
	v_cndmask_b32_e64 v13, -v17, v13, vcc
	v_bitop3_b32 v13, v14, v13, s4 bitop3:0x6c
	v_cndmask_b32_e64 v13, v20, v13, s[2:3]
	s_mov_b32 s2, 0xf800000
	v_mul_f32_e32 v14, 0x4f800000, v11
	v_cmp_gt_f32_e32 vcc, s2, v11
	v_div_fixup_f32 v12, v12, v18, v21
	v_mul_f32_e32 v12, v15, v12
	v_cndmask_b32_e32 v11, v11, v14, vcc
	v_sqrt_f32_e32 v14, v11
	v_mul_f32_e32 v12, v12, v13
	v_fmac_f32_e32 v12, v19, v6
	v_mul_f32_e32 v6, 0x3f4c422a, v12
	v_add_u32_e32 v12, -1, v14
	v_fma_f32 v13, -v12, v14, v11
	v_cmp_ge_f32_e64 s[2:3], 0, v13
	v_add_u32_e32 v13, 1, v14
	s_nop 0
	v_cndmask_b32_e64 v12, v14, v12, s[2:3]
	v_fma_f32 v14, -v13, v14, v11
	v_cmp_lt_f32_e64 s[2:3], 0, v14
	s_nop 1
	v_cndmask_b32_e64 v12, v12, v13, s[2:3]
	v_mul_f32_e32 v13, 0x37800000, v12
	v_cndmask_b32_e32 v12, v12, v13, vcc
	v_mov_b32_e32 v13, 0x260
	v_cmp_class_f32_e32 vcc, v11, v13
	s_nop 1
	v_cndmask_b32_e32 v11, v12, v11, vcc
	v_div_scale_f32 v12, s[2:3], v11, v11, v6
	v_rcp_f32_e32 v13, v12
	s_nop 0
	v_fma_f32 v14, -v12, v13, 1.0
	v_fmac_f32_e32 v13, v14, v13
	v_div_scale_f32 v14, vcc, v6, v11, v6
	v_mul_f32_e32 v15, v14, v13
	v_fma_f32 v16, -v12, v15, v14
	v_fmac_f32_e32 v15, v16, v13
	v_fma_f32 v12, -v12, v15, v14
	v_div_fmas_f32 v12, v12, v13, v15
	v_div_fixup_f32 v6, v12, v11, v6
.LBB12_61:
	s_or_b64 exec, exec, s[10:11]
.LBB12_62:
	s_or_b64 exec, exec, s[8:9]
	v_add_u32_e32 v11, 0x300, v7
	v_cmp_lt_i32_e32 vcc, v11, v4
	s_and_saveexec_b64 s[8:9], vcc
	s_cbranch_execz .LBB12_72
; %bb.63:
	s_mov_b32 s2, 0x40a00000
	v_cmp_ge_f32_e32 vcc, s2, v9
	s_and_saveexec_b64 s[2:3], vcc
	s_xor_b64 s[4:5], exec, s[2:3]
                                        ; implicit-def: $vgpr3
	s_cbranch_execz .LBB12_69
; %bb.64:
	v_cmp_neq_f32_e32 vcc, 0, v9
	v_mov_b32_e32 v3, 0xff800000
	s_and_saveexec_b64 s[6:7], vcc
	s_cbranch_execz .LBB12_68
; %bb.65:
	v_cmp_nge_f32_e32 vcc, 0, v9
	v_mov_b32_e32 v3, 0x7fc00000
	s_and_saveexec_b64 s[10:11], vcc
	s_cbranch_execz .LBB12_67
; %bb.66:
	v_mul_f32_e32 v12, v9, v9
	v_mov_b32_e32 v3, 0x4414934d
	v_fmac_f32_e32 v3, 0, v12
	v_fmaak_f32 v3, v12, v3, 0x48660b06
	s_mov_b32 s2, 0x4e9695f3
	v_mul_f32_e32 v14, 0, v12
	v_mul_f32_e32 v15, v12, v3
	s_mov_b32 s3, 0x4c8c277d
	v_pk_add_f32 v[16:17], v[14:15], s[2:3]
	s_mov_b32 s2, 0xd316b96b
	s_mov_b32 s3, 0x508bc61d
	v_pk_fma_f32 v[16:17], v[12:13], v[16:17], s[2:3] op_sel_hi:[0,1,1]
	s_mov_b32 s2, 0x56d04aa6
	s_mov_b32 s3, 0x5461faf8
	v_pk_fma_f32 v[16:17], v[12:13], v[16:17], s[2:3] op_sel_hi:[0,1,1]
	;; [unrolled: 3-line block ×5, first 2 shown]
	v_div_scale_f32 v3, s[2:3], v17, v17, v16
	v_rcp_f32_e32 v11, v3
	s_mov_b32 s2, 0xce5691e2
	s_mov_b32 s3, 0x548a37dc
	v_fma_f32 v13, -v3, v11, 1.0
	v_fmac_f32_e32 v11, v13, v11
	v_div_scale_f32 v13, vcc, v16, v17, v16
	v_mul_f32_e32 v18, v13, v11
	v_fma_f32 v15, -v3, v18, v13
	v_fmac_f32_e32 v18, v15, v11
	v_fma_f32 v3, -v3, v18, v13
	v_mov_b32_e32 v13, 0x441b3589
	v_fmac_f32_e32 v13, 0, v12
	v_fmaak_f32 v13, v12, v13, 0x487af6d0
	v_fmaak_f32 v13, v12, v13, 0x4c9f4aa7
	;; [unrolled: 1-line block ×3, first 2 shown]
	v_mul_f32_e32 v15, v12, v13
	v_pk_add_f32 v[14:15], v[14:15], s[2:3]
	s_mov_b32 s2, 0x52d295d0
	s_mov_b32 s3, 0x58325852
	v_pk_fma_f32 v[14:15], v[12:13], v[14:15], s[2:3] op_sel_hi:[0,1,1]
	s_mov_b32 s2, 0xd6845497
	s_mov_b32 s3, 0x5b9f0600
	v_pk_fma_f32 v[14:15], v[12:13], v[14:15], s[2:3] op_sel_hi:[0,1,1]
	;; [unrolled: 3-line block ×3, first 2 shown]
	v_div_scale_f32 v13, s[2:3], v15, v15, v14
	v_rcp_f32_e32 v19, v13
	v_div_fmas_f32 v3, v3, v11, v18
	v_div_fixup_f32 v11, v3, v17, v16
	s_mov_b32 s2, 0xc244dfb3
	v_fma_f32 v3, -v13, v19, 1.0
	v_fmac_f32_e32 v19, v3, v19
	v_div_scale_f32 v3, vcc, v14, v15, v14
	v_mul_f32_e32 v16, v3, v19
	v_fma_f32 v17, -v13, v16, v3
	v_fmac_f32_e32 v16, v17, v19
	s_mov_b32 s3, 0xc16ae95a
	v_fma_f32 v3, -v13, v16, v3
	v_pk_add_f32 v[12:13], v[12:13], s[2:3] op_sel_hi:[0,1]
	s_mov_b32 s2, 0x800000
	v_div_fmas_f32 v3, v3, v19, v16
	v_cmp_gt_f32_e32 vcc, s2, v9
	v_div_fixup_f32 v3, v3, v15, v14
	v_mul_f32_e32 v3, v9, v3
	v_cndmask_b32_e64 v14, 0, 32, vcc
	v_ldexp_f32 v14, v9, v14
	v_log_f32_e32 v14, v14
	v_mul_f32_e32 v3, v13, v3
	v_mul_f32_e32 v3, v12, v3
	s_mov_b32 s2, 0x3f317217
	v_mul_f32_e32 v12, 0x3f317217, v14
	v_fma_f32 v12, v14, s2, -v12
	v_fmamk_f32 v12, v14, 0x3377d1cf, v12
	s_mov_b32 s2, 0x7f800000
	v_fmac_f32_e32 v12, 0x3f317217, v14
	v_cmp_lt_f32_e64 s[2:3], |v14|, s2
	v_mov_b32_e32 v15, 0x41b17218
	v_cndmask_b32_e32 v15, 0, v15, vcc
	v_cndmask_b32_e64 v12, v14, v12, s[2:3]
	v_div_scale_f32 v13, s[2:3], v9, v9, -1.0
	v_rcp_f32_e32 v14, v13
	v_sub_f32_e32 v12, v12, v15
	v_fma_f32 v15, -v13, v14, 1.0
	v_fmac_f32_e32 v14, v15, v14
	v_div_scale_f32 v15, vcc, -1.0, v9, -1.0
	v_mul_f32_e32 v16, v15, v14
	v_fma_f32 v17, -v13, v16, v15
	v_fmac_f32_e32 v16, v17, v14
	v_fma_f32 v13, -v13, v16, v15
	v_div_fmas_f32 v13, v13, v14, v16
	v_div_fixup_f32 v13, v13, v9, -1.0
	v_fmac_f32_e32 v13, v12, v3
	v_mul_f32_e32 v3, 0x3f22f983, v13
	v_fmac_f32_e32 v3, v9, v11
.LBB12_67:
	s_or_b64 exec, exec, s[10:11]
.LBB12_68:
	s_or_b64 exec, exec, s[6:7]
                                        ; implicit-def: $vgpr9
.LBB12_69:
	s_andn2_saveexec_b64 s[10:11], s[4:5]
	s_cbranch_execz .LBB12_84
; %bb.70:
	v_add_f32_e32 v3, 0xc016cbe4, v9
	v_and_b32_e32 v11, 0x7fffffff, v3
	s_brev_b32 s2, 18
	v_cmp_nlt_f32_e64 s[12:13], |v3|, s2
	v_lshrrev_b32_e32 v14, 23, v11
                                        ; implicit-def: $vgpr12
                                        ; implicit-def: $vgpr13
	s_and_saveexec_b64 s[2:3], s[12:13]
	s_xor_b64 s[14:15], exec, s[2:3]
	s_cbranch_execz .LBB12_77
; %bb.71:
	v_add_u32_e32 v12, 0xffffff88, v14
	v_not_b32_e32 v13, 63
	v_cmp_lt_u32_e32 vcc, 63, v12
	s_mov_b32 s6, 0xfe5163ab
	v_mov_b32_e32 v17, 0
	v_cndmask_b32_e32 v13, 0, v13, vcc
	v_add_u32_e32 v12, v13, v12
	v_not_b32_e32 v13, 31
	v_cmp_lt_u32_e64 s[2:3], 31, v12
	s_nop 1
	v_cndmask_b32_e64 v15, 0, v13, s[2:3]
	v_add_u32_e32 v12, v15, v12
	v_cmp_lt_u32_e64 s[4:5], 31, v12
	s_nop 1
	v_cndmask_b32_e64 v13, 0, v13, s[4:5]
	v_add_u32_e32 v15, v13, v12
	v_and_b32_e32 v12, 0x7fffff, v11
	v_or_b32_e32 v28, 0x800000, v12
	v_mad_u64_u32 v[12:13], s[6:7], v28, s6, 0
	v_mov_b32_e32 v16, v13
	s_mov_b32 s6, 0x3c439041
	v_mad_u64_u32 v[18:19], s[6:7], v28, s6, v[16:17]
	v_mov_b32_e32 v16, v19
	s_mov_b32 s6, 0xdb629599
	;; [unrolled: 3-line block ×6, first 2 shown]
	v_mad_u64_u32 v[16:17], s[6:7], v28, s6, v[16:17]
	v_cndmask_b32_e32 v13, v26, v22, vcc
	v_cndmask_b32_e32 v16, v16, v24, vcc
	;; [unrolled: 1-line block ×3, first 2 shown]
	v_cndmask_b32_e64 v19, v16, v13, s[2:3]
	v_cndmask_b32_e64 v16, v17, v16, s[2:3]
	v_cndmask_b32_e32 v17, v24, v20, vcc
	v_cndmask_b32_e64 v13, v13, v17, s[2:3]
	v_cndmask_b32_e64 v16, v16, v19, s[4:5]
	;; [unrolled: 1-line block ×3, first 2 shown]
	v_sub_u32_e32 v21, 32, v15
	v_alignbit_b32 v23, v16, v19, v21
	v_cmp_eq_u32_e64 s[6:7], 0, v15
	v_cndmask_b32_e32 v12, v20, v12, vcc
	s_nop 0
	v_cndmask_b32_e64 v15, v23, v16, s[6:7]
	v_cndmask_b32_e32 v16, v22, v18, vcc
	v_cndmask_b32_e64 v17, v17, v16, s[2:3]
	v_cndmask_b32_e64 v13, v13, v17, s[4:5]
	v_alignbit_b32 v18, v19, v13, v21
	v_cndmask_b32_e64 v18, v18, v19, s[6:7]
	v_bfe_u32 v23, v15, 29, 1
	v_cndmask_b32_e64 v12, v16, v12, s[2:3]
	v_alignbit_b32 v19, v15, v18, 30
	v_sub_u32_e32 v24, 0, v23
	v_cndmask_b32_e64 v12, v17, v12, s[4:5]
	v_xor_b32_e32 v19, v19, v24
	v_alignbit_b32 v16, v13, v12, v21
	v_cndmask_b32_e64 v13, v16, v13, s[6:7]
	v_ffbh_u32_e32 v17, v19
	v_alignbit_b32 v16, v18, v13, 30
	v_min_u32_e32 v17, 32, v17
	v_alignbit_b32 v12, v13, v12, 30
	v_xor_b32_e32 v16, v16, v24
	v_sub_u32_e32 v18, 31, v17
	v_xor_b32_e32 v12, v12, v24
	v_alignbit_b32 v19, v19, v16, v18
	v_alignbit_b32 v12, v16, v12, v18
	;; [unrolled: 1-line block ×3, first 2 shown]
	v_ffbh_u32_e32 v16, v13
	v_min_u32_e32 v16, 32, v16
	v_lshrrev_b32_e32 v22, 29, v15
	v_not_b32_e32 v18, v16
	v_alignbit_b32 v12, v13, v12, v18
	v_lshlrev_b32_e32 v13, 31, v22
	v_or_b32_e32 v18, 0x33000000, v13
	v_add_lshl_u32 v16, v16, v17, 23
	v_lshrrev_b32_e32 v12, 9, v12
	v_sub_u32_e32 v16, v18, v16
	v_or_b32_e32 v13, 0.5, v13
	v_lshlrev_b32_e32 v17, 23, v17
	v_or_b32_e32 v12, v16, v12
	v_lshrrev_b32_e32 v16, 9, v19
	v_sub_u32_e32 v13, v13, v17
	v_or_b32_e32 v13, v16, v13
	s_mov_b32 s2, 0x3fc90fda
	v_mul_f32_e32 v16, 0x3fc90fda, v13
	v_fma_f32 v17, v13, s2, -v16
	v_fmamk_f32 v13, v13, 0x33a22168, v17
	v_fmac_f32_e32 v13, 0x3fc90fda, v12
	v_lshrrev_b32_e32 v12, 30, v15
	v_add_f32_e32 v13, v16, v13
	v_add_u32_e32 v12, v23, v12
	s_andn2_saveexec_b64 s[2:3], s[14:15]
	s_cbranch_execz .LBB12_79
	s_branch .LBB12_78
.LBB12_72:
	s_or_b64 exec, exec, s[8:9]
	s_and_saveexec_b64 s[2:3], s[0:1]
	s_xor_b64 s[0:1], exec, s[2:3]
	s_cbranch_execz .LBB12_85
.LBB12_73:
	v_mov_b32_e32 v9, 0
	v_lshl_add_u64 v[8:9], v[8:9], 2, v[0:1]
	v_mov_b32_e32 v7, v10
	flat_store_dword v[8:9], v2
	s_or_b64 exec, exec, s[0:1]
	v_cmp_lt_i32_e32 vcc, v7, v4
	s_and_saveexec_b64 s[0:1], vcc
	s_cbranch_execnz .LBB12_86
.LBB12_74:
	s_or_b64 exec, exec, s[0:1]
	v_cmp_lt_i32_e32 vcc, v7, v4
	s_and_saveexec_b64 s[0:1], vcc
	s_cbranch_execz .LBB12_87
.LBB12_75:
	v_add_u32_e32 v8, s16, v7
	v_mov_b32_e32 v9, 0
	v_lshl_add_u64 v[8:9], v[8:9], 2, v[0:1]
	v_add_u32_e32 v7, 0x100, v7
	flat_store_dword v[8:9], v6
	s_or_b64 exec, exec, s[0:1]
	v_cmp_lt_i32_e32 vcc, v7, v4
	s_and_saveexec_b64 s[0:1], vcc
	s_cbranch_execnz .LBB12_88
.LBB12_76:
	s_or_b64 exec, exec, s[0:1]
	s_waitcnt vmcnt(0) lgkmcnt(0)
	s_setpc_b64 s[30:31]
.LBB12_77:
	s_andn2_saveexec_b64 s[2:3], s[14:15]
	s_cbranch_execz .LBB12_79
.LBB12_78:
	s_mov_b32 s4, 0x3f22f983
	v_mul_f32_e64 v12, |v3|, s4
	v_rndne_f32_e32 v13, v12
	s_mov_b32 s4, 0xbfc90fda
	v_cvt_i32_f32_e32 v12, v13
	v_fma_f32 v15, v13, s4, |v3|
	v_fmamk_f32 v15, v13, 0xb3a22168, v15
	v_fmamk_f32 v13, v13, 0xa7c234c4, v15
.LBB12_79:
	s_or_b64 exec, exec, s[2:3]
                                        ; implicit-def: $vgpr15
                                        ; implicit-def: $vgpr16
	s_and_saveexec_b64 s[2:3], s[12:13]
	s_xor_b64 s[12:13], exec, s[2:3]
	s_cbranch_execz .LBB12_81
; %bb.80:
	v_add_u32_e32 v14, 0xffffff88, v14
	v_not_b32_e32 v15, 63
	v_cmp_lt_u32_e32 vcc, 63, v14
	s_mov_b32 s6, 0xfe5163ab
	v_mov_b32_e32 v17, 0
	v_cndmask_b32_e32 v15, 0, v15, vcc
	v_add_u32_e32 v14, v15, v14
	v_not_b32_e32 v15, 31
	v_cmp_lt_u32_e64 s[2:3], 31, v14
	s_nop 1
	v_cndmask_b32_e64 v16, 0, v15, s[2:3]
	v_add_u32_e32 v14, v16, v14
	v_cmp_lt_u32_e64 s[4:5], 31, v14
	s_nop 1
	v_cndmask_b32_e64 v15, 0, v15, s[4:5]
	v_add_u32_e32 v28, v15, v14
	v_and_b32_e32 v14, 0x7fffff, v11
	v_or_b32_e32 v29, 0x800000, v14
	v_mad_u64_u32 v[14:15], s[6:7], v29, s6, 0
	v_mov_b32_e32 v16, v15
	s_mov_b32 s6, 0x3c439041
	v_mad_u64_u32 v[18:19], s[6:7], v29, s6, v[16:17]
	v_mov_b32_e32 v16, v19
	s_mov_b32 s6, 0xdb629599
	;; [unrolled: 3-line block ×6, first 2 shown]
	v_mad_u64_u32 v[16:17], s[6:7], v29, s6, v[16:17]
	v_cndmask_b32_e32 v15, v26, v22, vcc
	v_cndmask_b32_e32 v16, v16, v24, vcc
	;; [unrolled: 1-line block ×3, first 2 shown]
	v_cndmask_b32_e64 v19, v16, v15, s[2:3]
	v_cndmask_b32_e64 v16, v17, v16, s[2:3]
	v_cndmask_b32_e32 v17, v24, v20, vcc
	v_cndmask_b32_e64 v15, v15, v17, s[2:3]
	v_cndmask_b32_e64 v16, v16, v19, s[4:5]
	;; [unrolled: 1-line block ×3, first 2 shown]
	v_sub_u32_e32 v21, 32, v28
	v_alignbit_b32 v23, v16, v19, v21
	v_cmp_eq_u32_e64 s[6:7], 0, v28
	v_cndmask_b32_e32 v14, v20, v14, vcc
	s_nop 0
	v_cndmask_b32_e64 v23, v23, v16, s[6:7]
	v_cndmask_b32_e32 v16, v22, v18, vcc
	v_cndmask_b32_e64 v17, v17, v16, s[2:3]
	v_cndmask_b32_e64 v15, v15, v17, s[4:5]
	v_alignbit_b32 v18, v19, v15, v21
	v_cndmask_b32_e64 v18, v18, v19, s[6:7]
	v_bfe_u32 v24, v23, 29, 1
	v_cndmask_b32_e64 v14, v16, v14, s[2:3]
	v_alignbit_b32 v19, v23, v18, 30
	v_sub_u32_e32 v25, 0, v24
	v_cndmask_b32_e64 v14, v17, v14, s[4:5]
	v_xor_b32_e32 v19, v19, v25
	v_alignbit_b32 v16, v15, v14, v21
	v_cndmask_b32_e64 v15, v16, v15, s[6:7]
	v_ffbh_u32_e32 v17, v19
	v_alignbit_b32 v16, v18, v15, 30
	v_min_u32_e32 v17, 32, v17
	v_alignbit_b32 v14, v15, v14, 30
	v_xor_b32_e32 v16, v16, v25
	v_sub_u32_e32 v18, 31, v17
	v_xor_b32_e32 v14, v14, v25
	v_alignbit_b32 v19, v19, v16, v18
	v_alignbit_b32 v14, v16, v14, v18
	;; [unrolled: 1-line block ×3, first 2 shown]
	v_ffbh_u32_e32 v16, v15
	v_min_u32_e32 v16, 32, v16
	v_lshrrev_b32_e32 v22, 29, v23
	v_not_b32_e32 v18, v16
	v_alignbit_b32 v14, v15, v14, v18
	v_lshlrev_b32_e32 v15, 31, v22
	v_or_b32_e32 v18, 0x33000000, v15
	v_add_lshl_u32 v16, v16, v17, 23
	v_lshrrev_b32_e32 v14, 9, v14
	v_sub_u32_e32 v16, v18, v16
	v_or_b32_e32 v15, 0.5, v15
	v_lshlrev_b32_e32 v17, 23, v17
	v_or_b32_e32 v14, v16, v14
	v_lshrrev_b32_e32 v16, 9, v19
	v_sub_u32_e32 v15, v15, v17
	v_or_b32_e32 v15, v16, v15
	s_mov_b32 s2, 0x3fc90fda
	v_mul_f32_e32 v16, 0x3fc90fda, v15
	v_fma_f32 v17, v15, s2, -v16
	v_fmamk_f32 v15, v15, 0x33a22168, v17
	v_fmac_f32_e32 v15, 0x3fc90fda, v14
	v_lshrrev_b32_e32 v14, 30, v23
	v_add_f32_e32 v16, v16, v15
	v_add_u32_e32 v15, v24, v14
	s_andn2_saveexec_b64 s[2:3], s[12:13]
	s_cbranch_execnz .LBB12_82
	s_branch .LBB12_83
.LBB12_81:
	s_andn2_saveexec_b64 s[2:3], s[12:13]
	s_cbranch_execz .LBB12_83
.LBB12_82:
	s_mov_b32 s4, 0x3f22f983
	v_mul_f32_e64 v14, |v3|, s4
	v_rndne_f32_e32 v14, v14
	s_mov_b32 s4, 0xbfc90fda
	v_cvt_i32_f32_e32 v15, v14
	v_fma_f32 v16, v14, s4, |v3|
	v_fmamk_f32 v16, v14, 0xb3a22168, v16
	v_fmamk_f32 v16, v14, 0xa7c234c4, v16
.LBB12_83:
	s_or_b64 exec, exec, s[2:3]
	s_mov_b32 s4, 0x40a00000
	v_div_scale_f32 v14, s[2:3], v9, v9, s4
	v_rcp_f32_e32 v17, v14
	v_div_scale_f32 v18, vcc, s4, v9, s4
	v_mov_b32_e32 v21, 0x42947983
	v_fma_f32 v19, -v14, v17, 1.0
	v_fmac_f32_e32 v17, v19, v17
	v_mul_f32_e32 v19, v18, v17
	v_fma_f32 v20, -v14, v19, v18
	v_fmac_f32_e32 v19, v20, v17
	v_fma_f32 v14, -v14, v19, v18
	v_div_fmas_f32 v14, v14, v17, v19
	v_div_fixup_f32 v14, v14, v9, s4
	v_mul_f32_e32 v17, v14, v14
	v_mov_b32_e32 v18, 0x3a47c962
	v_mov_b32_e32 v19, 0x3a15c4d9
	v_fmac_f32_e32 v18, 0, v17
	v_fmac_f32_e32 v19, 0, v17
	v_fmaak_f32 v18, v17, v18, 0x3d95ca45
	v_fmaak_f32 v19, v17, v19, 0x3d8cfeeb
	;; [unrolled: 1-line block ×8, first 2 shown]
	v_mov_b32_e32 v20, 0x3d513fd3
	v_fmaak_f32 v18, v17, v18, 0x40a6dd51
	v_fmaak_f32 v19, v17, v19, 0x40a6b6ea
	v_fmac_f32_e32 v20, 0, v17
	v_fma_f32 v19, v17, v19, 1.0
	v_fmaak_f32 v20, v17, v20, 0x409f6dae
	v_fmac_f32_e32 v21, 0, v17
	v_fma_f32 v18, v17, v18, 1.0
	v_fmaak_f32 v20, v17, v20, 0x4297a5cd
	v_fmaak_f32 v21, v17, v21, 0x44840e5d
	v_div_scale_f32 v22, s[2:3], v19, v19, v18
	v_fmaak_f32 v20, v17, v20, 0x43b763ca
	v_fmaak_f32 v21, v17, v21, 0x459bd349
	v_rcp_f32_e32 v23, v22
	v_fmaak_f32 v20, v17, v20, 0x4431b6ce
	v_fmaak_f32 v21, v17, v21, 0x46156947
	;; [unrolled: 1-line block ×8, first 2 shown]
	v_fma_f32 v21, -v22, v23, 1.0
	v_fmac_f32_e32 v23, v21, v23
	v_div_scale_f32 v21, vcc, v18, v19, v18
	v_mul_f32_e32 v24, v21, v23
	v_fma_f32 v25, -v22, v24, v21
	v_fmac_f32_e32 v24, v25, v23
	v_fma_f32 v21, -v22, v24, v21
	v_div_fmas_f32 v21, v21, v23, v24
	v_div_fixup_f32 v18, v21, v19, v18
	v_mul_f32_e32 v19, v13, v13
	v_mov_b32_e32 v21, 0x3c0881c4
	v_fmamk_f32 v22, v19, 0xb94c1982, v21
	v_fmaak_f32 v22, v19, v22, 0xbe2aaa9d
	v_mul_f32_e32 v22, v19, v22
	v_fmac_f32_e32 v13, v13, v22
	v_mov_b32_e32 v22, 0xbab64f3b
	v_fmamk_f32 v24, v19, 0x37d75334, v22
	v_fmaak_f32 v24, v19, v24, 0x3d2aabf7
	v_fmaak_f32 v24, v19, v24, 0xbf000004
	v_fma_f32 v19, v19, v24, 1.0
	v_and_b32_e32 v24, 1, v12
	v_lshlrev_b32_e32 v12, 30, v12
	v_cmp_eq_u32_e32 vcc, 0, v24
	v_and_b32_e32 v12, 0x80000000, v12
	v_xor_b32_e32 v11, v11, v3
	v_cndmask_b32_e32 v13, v19, v13, vcc
	v_xor_b32_e32 v11, v11, v12
	v_div_scale_f32 v12, s[2:3], v17, v17, v20
	v_xor_b32_e32 v11, v11, v13
	v_rcp_f32_e32 v13, v12
	s_movk_i32 s5, 0x1f8
	v_mov_b32_e32 v19, 0x7fc00000
	v_cmp_class_f32_e64 s[2:3], v3, s5
	v_mov_b32_e32 v23, 0xbe2aaa9d
	v_mov_b32_e32 v25, 0x3d2aabf7
	v_cndmask_b32_e64 v3, v19, v11, s[2:3]
	v_fma_f32 v11, -v12, v13, 1.0
	v_fmac_f32_e32 v13, v11, v13
	v_div_scale_f32 v11, vcc, v20, v17, v20
	v_mul_f32_e32 v24, v11, v13
	v_fma_f32 v27, -v12, v24, v11
	v_fmac_f32_e32 v24, v27, v13
	v_fma_f32 v11, -v12, v24, v11
	v_mul_f32_e32 v12, v16, v16
	v_fmac_f32_e32 v21, 0xb94c1982, v12
	v_fmac_f32_e32 v23, v12, v21
	;; [unrolled: 1-line block ×3, first 2 shown]
	v_mov_b32_e32 v26, 0xbf000004
	v_div_fmas_f32 v11, v11, v13, v24
	v_mul_f32_e32 v13, v12, v23
	v_fmac_f32_e32 v25, v12, v22
	v_fmac_f32_e32 v16, v16, v13
	;; [unrolled: 1-line block ×3, first 2 shown]
	v_and_b32_e32 v13, 1, v15
	v_fma_f32 v12, v12, v26, 1.0
	v_cmp_eq_u32_e32 vcc, 0, v13
	s_brev_b32 s4, 1
	v_lshlrev_b32_e32 v13, 30, v15
	v_cndmask_b32_e64 v12, -v16, v12, vcc
	v_bitop3_b32 v12, v13, v12, s4 bitop3:0x6c
	v_cndmask_b32_e64 v12, v19, v12, s[2:3]
	s_mov_b32 s2, 0xf800000
	v_mul_f32_e32 v13, 0x4f800000, v9
	v_cmp_gt_f32_e32 vcc, s2, v9
	v_div_fixup_f32 v11, v11, v17, v20
	v_mul_f32_e32 v11, v14, v11
	v_cndmask_b32_e32 v9, v9, v13, vcc
	v_sqrt_f32_e32 v13, v9
	v_mul_f32_e32 v11, v11, v12
	v_fmac_f32_e32 v11, v18, v3
	v_mul_f32_e32 v3, 0x3f4c422a, v11
	v_add_u32_e32 v11, -1, v13
	v_fma_f32 v12, -v11, v13, v9
	v_cmp_ge_f32_e64 s[2:3], 0, v12
	v_add_u32_e32 v12, 1, v13
	s_nop 0
	v_cndmask_b32_e64 v11, v13, v11, s[2:3]
	v_fma_f32 v13, -v12, v13, v9
	v_cmp_lt_f32_e64 s[2:3], 0, v13
	s_nop 1
	v_cndmask_b32_e64 v11, v11, v12, s[2:3]
	v_mul_f32_e32 v12, 0x37800000, v11
	v_cndmask_b32_e32 v11, v11, v12, vcc
	v_mov_b32_e32 v12, 0x260
	v_cmp_class_f32_e32 vcc, v9, v12
	s_nop 1
	v_cndmask_b32_e32 v9, v11, v9, vcc
	v_div_scale_f32 v11, s[2:3], v9, v9, v3
	v_rcp_f32_e32 v12, v11
	s_nop 0
	v_fma_f32 v13, -v11, v12, 1.0
	v_fmac_f32_e32 v12, v13, v12
	v_div_scale_f32 v13, vcc, v3, v9, v3
	v_mul_f32_e32 v14, v13, v12
	v_fma_f32 v15, -v11, v14, v13
	v_fmac_f32_e32 v14, v15, v12
	v_fma_f32 v11, -v11, v14, v13
	v_div_fmas_f32 v11, v11, v12, v14
	v_div_fixup_f32 v3, v11, v9, v3
.LBB12_84:
	s_or_b64 exec, exec, s[10:11]
	s_or_b64 exec, exec, s[8:9]
	s_and_saveexec_b64 s[2:3], s[0:1]
	s_xor_b64 s[0:1], exec, s[2:3]
	s_cbranch_execnz .LBB12_73
.LBB12_85:
	s_or_b64 exec, exec, s[0:1]
	v_cmp_lt_i32_e32 vcc, v7, v4
	s_and_saveexec_b64 s[0:1], vcc
	s_cbranch_execz .LBB12_74
.LBB12_86:
	v_add_u32_e32 v8, s16, v7
	v_mov_b32_e32 v9, 0
	v_lshl_add_u64 v[8:9], v[8:9], 2, v[0:1]
	v_add_u32_e32 v7, 0x100, v7
	flat_store_dword v[8:9], v5
	s_or_b64 exec, exec, s[0:1]
	v_cmp_lt_i32_e32 vcc, v7, v4
	s_and_saveexec_b64 s[0:1], vcc
	s_cbranch_execnz .LBB12_75
.LBB12_87:
	s_or_b64 exec, exec, s[0:1]
	v_cmp_lt_i32_e32 vcc, v7, v4
	s_and_saveexec_b64 s[0:1], vcc
	s_cbranch_execz .LBB12_76
.LBB12_88:
	v_add_u32_e32 v4, s16, v7
	v_mov_b32_e32 v5, 0
	v_lshl_add_u64 v[0:1], v[4:5], 2, v[0:1]
	flat_store_dword v[0:1], v3
	s_or_b64 exec, exec, s[0:1]
	s_waitcnt vmcnt(0) lgkmcnt(0)
	s_setpc_b64 s[30:31]
.Lfunc_end12:
	.size	_ZN2at6native25elementwise_kernel_helperILb0EZZZNS0_12_GLOBAL__N_121bessel_y1_kernel_cudaERNS_18TensorIteratorBaseEENKUlvE_clEvENKUlvE0_clEvEUlfE_NS0_6memory8policies11unroll_baseILi256ESt5arrayIPcLm2EE23TrivialOffsetCalculatorILi1EjESF_NS8_15LoadWithoutCastENS8_16StoreWithoutCastELi4ELi1EEEEEvT0_T1_, .Lfunc_end12-_ZN2at6native25elementwise_kernel_helperILb0EZZZNS0_12_GLOBAL__N_121bessel_y1_kernel_cudaERNS_18TensorIteratorBaseEENKUlvE_clEvENKUlvE0_clEvEUlfE_NS0_6memory8policies11unroll_baseILi256ESt5arrayIPcLm2EE23TrivialOffsetCalculatorILi1EjESF_NS8_15LoadWithoutCastENS8_16StoreWithoutCastELi4ELi1EEEEEvT0_T1_
                                        ; -- End function
	.set .L_ZN2at6native25elementwise_kernel_helperILb0EZZZNS0_12_GLOBAL__N_121bessel_y1_kernel_cudaERNS_18TensorIteratorBaseEENKUlvE_clEvENKUlvE0_clEvEUlfE_NS0_6memory8policies11unroll_baseILi256ESt5arrayIPcLm2EE23TrivialOffsetCalculatorILi1EjESF_NS8_15LoadWithoutCastENS8_16StoreWithoutCastELi4ELi1EEEEEvT0_T1_.num_vgpr, 32
	.set .L_ZN2at6native25elementwise_kernel_helperILb0EZZZNS0_12_GLOBAL__N_121bessel_y1_kernel_cudaERNS_18TensorIteratorBaseEENKUlvE_clEvENKUlvE0_clEvEUlfE_NS0_6memory8policies11unroll_baseILi256ESt5arrayIPcLm2EE23TrivialOffsetCalculatorILi1EjESF_NS8_15LoadWithoutCastENS8_16StoreWithoutCastELi4ELi1EEEEEvT0_T1_.num_agpr, 0
	.set .L_ZN2at6native25elementwise_kernel_helperILb0EZZZNS0_12_GLOBAL__N_121bessel_y1_kernel_cudaERNS_18TensorIteratorBaseEENKUlvE_clEvENKUlvE0_clEvEUlfE_NS0_6memory8policies11unroll_baseILi256ESt5arrayIPcLm2EE23TrivialOffsetCalculatorILi1EjESF_NS8_15LoadWithoutCastENS8_16StoreWithoutCastELi4ELi1EEEEEvT0_T1_.numbered_sgpr, 32
	.set .L_ZN2at6native25elementwise_kernel_helperILb0EZZZNS0_12_GLOBAL__N_121bessel_y1_kernel_cudaERNS_18TensorIteratorBaseEENKUlvE_clEvENKUlvE0_clEvEUlfE_NS0_6memory8policies11unroll_baseILi256ESt5arrayIPcLm2EE23TrivialOffsetCalculatorILi1EjESF_NS8_15LoadWithoutCastENS8_16StoreWithoutCastELi4ELi1EEEEEvT0_T1_.num_named_barrier, 0
	.set .L_ZN2at6native25elementwise_kernel_helperILb0EZZZNS0_12_GLOBAL__N_121bessel_y1_kernel_cudaERNS_18TensorIteratorBaseEENKUlvE_clEvENKUlvE0_clEvEUlfE_NS0_6memory8policies11unroll_baseILi256ESt5arrayIPcLm2EE23TrivialOffsetCalculatorILi1EjESF_NS8_15LoadWithoutCastENS8_16StoreWithoutCastELi4ELi1EEEEEvT0_T1_.private_seg_size, 0
	.set .L_ZN2at6native25elementwise_kernel_helperILb0EZZZNS0_12_GLOBAL__N_121bessel_y1_kernel_cudaERNS_18TensorIteratorBaseEENKUlvE_clEvENKUlvE0_clEvEUlfE_NS0_6memory8policies11unroll_baseILi256ESt5arrayIPcLm2EE23TrivialOffsetCalculatorILi1EjESF_NS8_15LoadWithoutCastENS8_16StoreWithoutCastELi4ELi1EEEEEvT0_T1_.uses_vcc, 1
	.set .L_ZN2at6native25elementwise_kernel_helperILb0EZZZNS0_12_GLOBAL__N_121bessel_y1_kernel_cudaERNS_18TensorIteratorBaseEENKUlvE_clEvENKUlvE0_clEvEUlfE_NS0_6memory8policies11unroll_baseILi256ESt5arrayIPcLm2EE23TrivialOffsetCalculatorILi1EjESF_NS8_15LoadWithoutCastENS8_16StoreWithoutCastELi4ELi1EEEEEvT0_T1_.uses_flat_scratch, 0
	.set .L_ZN2at6native25elementwise_kernel_helperILb0EZZZNS0_12_GLOBAL__N_121bessel_y1_kernel_cudaERNS_18TensorIteratorBaseEENKUlvE_clEvENKUlvE0_clEvEUlfE_NS0_6memory8policies11unroll_baseILi256ESt5arrayIPcLm2EE23TrivialOffsetCalculatorILi1EjESF_NS8_15LoadWithoutCastENS8_16StoreWithoutCastELi4ELi1EEEEEvT0_T1_.has_dyn_sized_stack, 0
	.set .L_ZN2at6native25elementwise_kernel_helperILb0EZZZNS0_12_GLOBAL__N_121bessel_y1_kernel_cudaERNS_18TensorIteratorBaseEENKUlvE_clEvENKUlvE0_clEvEUlfE_NS0_6memory8policies11unroll_baseILi256ESt5arrayIPcLm2EE23TrivialOffsetCalculatorILi1EjESF_NS8_15LoadWithoutCastENS8_16StoreWithoutCastELi4ELi1EEEEEvT0_T1_.has_recursion, 0
	.set .L_ZN2at6native25elementwise_kernel_helperILb0EZZZNS0_12_GLOBAL__N_121bessel_y1_kernel_cudaERNS_18TensorIteratorBaseEENKUlvE_clEvENKUlvE0_clEvEUlfE_NS0_6memory8policies11unroll_baseILi256ESt5arrayIPcLm2EE23TrivialOffsetCalculatorILi1EjESF_NS8_15LoadWithoutCastENS8_16StoreWithoutCastELi4ELi1EEEEEvT0_T1_.has_indirect_call, 0
	.section	.AMDGPU.csdata,"",@progbits
; Function info:
; codeLenInByte = 13204
; TotalNumSgprs: 38
; NumVgprs: 32
; NumAgprs: 0
; TotalNumVgprs: 32
; ScratchSize: 0
; MemoryBound: 0
	.text
	.p2align	2                               ; -- Begin function _ZN2at6native25elementwise_kernel_helperILb0EZZZNS0_12_GLOBAL__N_121bessel_y1_kernel_cudaERNS_18TensorIteratorBaseEENKUlvE_clEvENKUlvE0_clEvEUlfE_NS0_6memory8policies10vectorizedILi4ESt5arrayIPcLm2EELi4EEEEEvT0_T1_
	.type	_ZN2at6native25elementwise_kernel_helperILb0EZZZNS0_12_GLOBAL__N_121bessel_y1_kernel_cudaERNS_18TensorIteratorBaseEENKUlvE_clEvENKUlvE0_clEvEUlfE_NS0_6memory8policies10vectorizedILi4ESt5arrayIPcLm2EELi4EEEEEvT0_T1_,@function
_ZN2at6native25elementwise_kernel_helperILb0EZZZNS0_12_GLOBAL__N_121bessel_y1_kernel_cudaERNS_18TensorIteratorBaseEENKUlvE_clEvENKUlvE0_clEvEUlfE_NS0_6memory8policies10vectorizedILi4ESt5arrayIPcLm2EELi4EEEEEvT0_T1_: ; @_ZN2at6native25elementwise_kernel_helperILb0EZZZNS0_12_GLOBAL__N_121bessel_y1_kernel_cudaERNS_18TensorIteratorBaseEENKUlvE_clEvENKUlvE0_clEvEUlfE_NS0_6memory8policies10vectorizedILi4ESt5arrayIPcLm2EELi4EEEEEvT0_T1_
; %bb.0:
	s_waitcnt vmcnt(0) expcnt(0) lgkmcnt(0)
	s_lshl_b32 s6, s12, 10
	s_ashr_i32 s7, s6, 31
	v_and_b32_e32 v4, 0x3ff, v31
	v_lshl_add_u64 v[2:3], s[6:7], 2, v[2:3]
	v_mov_b32_e32 v11, 0
	v_lshlrev_b32_e32 v10, 4, v4
	v_lshl_add_u64 v[2:3], v[2:3], 0, v[10:11]
	flat_load_dwordx4 v[2:5], v[2:3]
	s_mov_b32 s0, 0x40a00000
                                        ; implicit-def: $vgpr6
	s_waitcnt vmcnt(0) lgkmcnt(0)
	v_cmp_ge_f32_e32 vcc, s0, v2
	s_and_saveexec_b64 s[0:1], vcc
	s_xor_b64 s[2:3], exec, s[0:1]
	s_cbranch_execz .LBB13_6
; %bb.1:
	v_cmp_neq_f32_e32 vcc, 0, v2
	v_mov_b32_e32 v6, 0xff800000
	s_and_saveexec_b64 s[4:5], vcc
	s_cbranch_execz .LBB13_5
; %bb.2:
	v_cmp_nge_f32_e32 vcc, 0, v2
	v_mov_b32_e32 v6, 0x7fc00000
	s_and_saveexec_b64 s[8:9], vcc
	s_cbranch_execz .LBB13_4
; %bb.3:
	v_mul_f32_e32 v6, v2, v2
	v_mov_b32_e32 v7, 0x4414934d
	v_fmac_f32_e32 v7, 0, v6
	v_fmaak_f32 v7, v6, v7, 0x48660b06
	s_mov_b32 s0, 0x4e9695f3
	v_mul_f32_e32 v8, 0, v6
	v_mul_f32_e32 v9, v6, v7
	s_mov_b32 s1, 0x4c8c277d
	v_pk_add_f32 v[12:13], v[8:9], s[0:1]
	s_mov_b32 s0, 0xd316b96b
	s_mov_b32 s1, 0x508bc61d
	v_pk_fma_f32 v[12:13], v[6:7], v[12:13], s[0:1] op_sel_hi:[0,1,1]
	s_mov_b32 s0, 0x56d04aa6
	s_mov_b32 s1, 0x5461faf8
	v_pk_fma_f32 v[12:13], v[6:7], v[12:13], s[0:1] op_sel_hi:[0,1,1]
	s_mov_b32 s0, 0xd9e700d2
	s_mov_b32 s1, 0x580d1937
	v_pk_fma_f32 v[12:13], v[6:7], v[12:13], s[0:1] op_sel_hi:[0,1,1]
	s_mov_b32 s0, 0x5c33cd68
	s_mov_b32 s1, 0x5b741f1e
	v_pk_fma_f32 v[12:13], v[6:7], v[12:13], s[0:1] op_sel_hi:[0,1,1]
	s_mov_b32 s0, 0xdd2cf20b
	s_mov_b32 s1, 0x5e5c878d
	v_pk_fma_f32 v[12:13], v[6:7], v[12:13], s[0:1] op_sel_hi:[0,1,1]
	v_div_scale_f32 v7, s[0:1], v13, v13, v12
	v_rcp_f32_e32 v11, v7
	s_mov_b32 s0, 0xce5691e2
	s_mov_b32 s1, 0x548a37dc
	v_fma_f32 v9, -v7, v11, 1.0
	v_fmac_f32_e32 v11, v9, v11
	v_div_scale_f32 v9, vcc, v12, v13, v12
	v_mul_f32_e32 v14, v9, v11
	v_fma_f32 v15, -v7, v14, v9
	v_fmac_f32_e32 v14, v15, v11
	v_fma_f32 v7, -v7, v14, v9
	v_mov_b32_e32 v9, 0x441b3589
	v_fmac_f32_e32 v9, 0, v6
	v_fmaak_f32 v9, v6, v9, 0x487af6d0
	v_fmaak_f32 v9, v6, v9, 0x4c9f4aa7
	;; [unrolled: 1-line block ×3, first 2 shown]
	v_mul_f32_e32 v9, v6, v9
	v_pk_add_f32 v[8:9], v[8:9], s[0:1]
	s_mov_b32 s0, 0x52d295d0
	s_mov_b32 s1, 0x58325852
	v_pk_fma_f32 v[8:9], v[6:7], v[8:9], s[0:1] op_sel_hi:[0,1,1]
	s_mov_b32 s0, 0xd6845497
	s_mov_b32 s1, 0x5b9f0600
	v_pk_fma_f32 v[8:9], v[6:7], v[8:9], s[0:1] op_sel_hi:[0,1,1]
	;; [unrolled: 3-line block ×3, first 2 shown]
	v_div_scale_f32 v15, s[0:1], v9, v9, v8
	v_rcp_f32_e32 v16, v15
	v_div_fmas_f32 v7, v7, v11, v14
	v_div_fixup_f32 v11, v7, v13, v12
	s_mov_b32 s0, 0xc244dfb3
	v_fma_f32 v7, -v15, v16, 1.0
	v_fmac_f32_e32 v16, v7, v16
	v_div_scale_f32 v7, vcc, v8, v9, v8
	v_mul_f32_e32 v12, v7, v16
	v_fma_f32 v13, -v15, v12, v7
	v_fmac_f32_e32 v12, v13, v16
	v_fma_f32 v7, -v15, v12, v7
	v_div_fmas_f32 v7, v7, v16, v12
	v_div_fixup_f32 v7, v7, v9, v8
	s_mov_b32 s1, 0xc16ae95a
	v_mul_f32_e32 v8, v2, v7
	v_pk_add_f32 v[6:7], v[6:7], s[0:1] op_sel_hi:[0,1]
	s_mov_b32 s0, 0x800000
	v_cmp_gt_f32_e32 vcc, s0, v2
	v_mul_f32_e32 v7, v7, v8
	v_mul_f32_e32 v6, v6, v7
	v_cndmask_b32_e64 v9, 0, 32, vcc
	v_ldexp_f32 v9, v2, v9
	v_log_f32_e32 v9, v9
	s_mov_b32 s0, 0x3f317217
	v_mov_b32_e32 v12, 0x41b17218
	v_cndmask_b32_e32 v12, 0, v12, vcc
	v_mul_f32_e32 v7, 0x3f317217, v9
	v_fma_f32 v7, v9, s0, -v7
	v_fmamk_f32 v7, v9, 0x3377d1cf, v7
	s_mov_b32 s0, 0x7f800000
	v_fmac_f32_e32 v7, 0x3f317217, v9
	v_cmp_lt_f32_e64 s[0:1], |v9|, s0
	s_nop 1
	v_cndmask_b32_e64 v7, v9, v7, s[0:1]
	v_div_scale_f32 v8, s[0:1], v2, v2, -1.0
	v_rcp_f32_e32 v9, v8
	v_sub_f32_e32 v7, v7, v12
	v_fma_f32 v12, -v8, v9, 1.0
	v_fmac_f32_e32 v9, v12, v9
	v_div_scale_f32 v12, vcc, -1.0, v2, -1.0
	v_mul_f32_e32 v13, v12, v9
	v_fma_f32 v14, -v8, v13, v12
	v_fmac_f32_e32 v13, v14, v9
	v_fma_f32 v8, -v8, v13, v12
	v_div_fmas_f32 v8, v8, v9, v13
	v_div_fixup_f32 v8, v8, v2, -1.0
	v_fmac_f32_e32 v8, v7, v6
	v_mul_f32_e32 v6, 0x3f22f983, v8
	v_fmac_f32_e32 v6, v2, v11
.LBB13_4:
	s_or_b64 exec, exec, s[8:9]
.LBB13_5:
	s_or_b64 exec, exec, s[4:5]
.LBB13_6:
	s_andn2_saveexec_b64 s[8:9], s[2:3]
	s_cbranch_execz .LBB13_16
; %bb.7:
	v_add_f32_e32 v6, 0xc016cbe4, v2
	v_and_b32_e32 v7, 0x7fffffff, v6
	s_brev_b32 s0, 18
	v_cmp_nlt_f32_e64 s[10:11], |v6|, s0
	v_lshrrev_b32_e32 v11, 23, v7
                                        ; implicit-def: $vgpr8
                                        ; implicit-def: $vgpr9
	s_and_saveexec_b64 s[0:1], s[10:11]
	s_xor_b64 s[12:13], exec, s[0:1]
	s_cbranch_execz .LBB13_9
; %bb.8:
	v_add_u32_e32 v8, 0xffffff88, v11
	v_not_b32_e32 v9, 63
	v_cmp_lt_u32_e32 vcc, 63, v8
	s_mov_b32 s4, 0xfe5163ab
	v_mov_b32_e32 v13, 0
	v_cndmask_b32_e32 v9, 0, v9, vcc
	v_add_u32_e32 v8, v9, v8
	v_not_b32_e32 v9, 31
	v_cmp_lt_u32_e64 s[0:1], 31, v8
	s_nop 1
	v_cndmask_b32_e64 v12, 0, v9, s[0:1]
	v_add_u32_e32 v8, v12, v8
	v_cmp_lt_u32_e64 s[2:3], 31, v8
	s_nop 1
	v_cndmask_b32_e64 v9, 0, v9, s[2:3]
	v_add_u32_e32 v24, v9, v8
	v_and_b32_e32 v8, 0x7fffff, v7
	v_or_b32_e32 v25, 0x800000, v8
	v_mad_u64_u32 v[8:9], s[4:5], v25, s4, 0
	v_mov_b32_e32 v12, v9
	s_mov_b32 s4, 0x3c439041
	v_mad_u64_u32 v[14:15], s[4:5], v25, s4, v[12:13]
	v_mov_b32_e32 v12, v15
	s_mov_b32 s4, 0xdb629599
	;; [unrolled: 3-line block ×6, first 2 shown]
	v_mad_u64_u32 v[12:13], s[4:5], v25, s4, v[12:13]
	v_cndmask_b32_e32 v9, v22, v18, vcc
	v_cndmask_b32_e32 v12, v12, v20, vcc
	v_cndmask_b32_e32 v13, v13, v22, vcc
	v_cndmask_b32_e64 v15, v12, v9, s[0:1]
	v_cndmask_b32_e64 v12, v13, v12, s[0:1]
	v_cndmask_b32_e32 v13, v20, v16, vcc
	v_cndmask_b32_e64 v9, v9, v13, s[0:1]
	v_cndmask_b32_e32 v14, v18, v14, vcc
	v_cndmask_b32_e64 v12, v12, v15, s[2:3]
	v_cndmask_b32_e64 v15, v15, v9, s[2:3]
	v_sub_u32_e32 v17, 32, v24
	v_cndmask_b32_e64 v13, v13, v14, s[0:1]
	v_alignbit_b32 v19, v12, v15, v17
	v_cmp_eq_u32_e64 s[4:5], 0, v24
	v_cndmask_b32_e64 v9, v9, v13, s[2:3]
	v_alignbit_b32 v18, v15, v9, v17
	v_cndmask_b32_e64 v12, v19, v12, s[4:5]
	v_cndmask_b32_e32 v8, v16, v8, vcc
	v_cndmask_b32_e64 v15, v18, v15, s[4:5]
	v_bfe_u32 v20, v12, 29, 1
	v_cndmask_b32_e64 v8, v14, v8, s[0:1]
	v_alignbit_b32 v18, v12, v15, 30
	v_sub_u32_e32 v21, 0, v20
	v_cndmask_b32_e64 v8, v13, v8, s[2:3]
	v_xor_b32_e32 v18, v18, v21
	v_alignbit_b32 v13, v9, v8, v17
	v_cndmask_b32_e64 v9, v13, v9, s[4:5]
	v_ffbh_u32_e32 v14, v18
	v_alignbit_b32 v13, v15, v9, 30
	v_min_u32_e32 v14, 32, v14
	v_alignbit_b32 v8, v9, v8, 30
	v_xor_b32_e32 v13, v13, v21
	v_sub_u32_e32 v15, 31, v14
	v_xor_b32_e32 v8, v8, v21
	v_alignbit_b32 v16, v18, v13, v15
	v_alignbit_b32 v8, v13, v8, v15
	;; [unrolled: 1-line block ×3, first 2 shown]
	v_ffbh_u32_e32 v13, v9
	v_min_u32_e32 v13, 32, v13
	v_lshrrev_b32_e32 v19, 29, v12
	v_not_b32_e32 v15, v13
	v_alignbit_b32 v8, v9, v8, v15
	v_lshlrev_b32_e32 v9, 31, v19
	v_or_b32_e32 v15, 0x33000000, v9
	v_add_lshl_u32 v13, v13, v14, 23
	v_lshrrev_b32_e32 v8, 9, v8
	v_sub_u32_e32 v13, v15, v13
	v_or_b32_e32 v9, 0.5, v9
	v_lshlrev_b32_e32 v14, 23, v14
	v_or_b32_e32 v8, v13, v8
	v_lshrrev_b32_e32 v13, 9, v16
	v_sub_u32_e32 v9, v9, v14
	v_or_b32_e32 v9, v13, v9
	s_mov_b32 s0, 0x3fc90fda
	v_mul_f32_e32 v13, 0x3fc90fda, v9
	v_fma_f32 v14, v9, s0, -v13
	v_fmamk_f32 v9, v9, 0x33a22168, v14
	v_fmac_f32_e32 v9, 0x3fc90fda, v8
	v_lshrrev_b32_e32 v8, 30, v12
	v_add_f32_e32 v9, v13, v9
	v_add_u32_e32 v8, v20, v8
	s_andn2_saveexec_b64 s[0:1], s[12:13]
	s_cbranch_execz .LBB13_11
	s_branch .LBB13_10
.LBB13_9:
	s_andn2_saveexec_b64 s[0:1], s[12:13]
	s_cbranch_execz .LBB13_11
.LBB13_10:
	s_mov_b32 s2, 0x3f22f983
	v_mul_f32_e64 v8, |v6|, s2
	v_rndne_f32_e32 v9, v8
	s_mov_b32 s2, 0xbfc90fda
	v_cvt_i32_f32_e32 v8, v9
	v_fma_f32 v12, v9, s2, |v6|
	v_fmamk_f32 v12, v9, 0xb3a22168, v12
	v_fmamk_f32 v9, v9, 0xa7c234c4, v12
.LBB13_11:
	s_or_b64 exec, exec, s[0:1]
                                        ; implicit-def: $vgpr12
                                        ; implicit-def: $vgpr13
	s_and_saveexec_b64 s[0:1], s[10:11]
	s_xor_b64 s[10:11], exec, s[0:1]
	s_cbranch_execz .LBB13_13
; %bb.12:
	v_add_u32_e32 v11, 0xffffff88, v11
	v_not_b32_e32 v12, 63
	v_cmp_lt_u32_e32 vcc, 63, v11
	s_mov_b32 s4, 0xfe5163ab
	v_mov_b32_e32 v15, 0
	v_cndmask_b32_e32 v12, 0, v12, vcc
	v_add_u32_e32 v11, v12, v11
	v_not_b32_e32 v12, 31
	v_cmp_lt_u32_e64 s[0:1], 31, v11
	s_nop 1
	v_cndmask_b32_e64 v13, 0, v12, s[0:1]
	v_add_u32_e32 v11, v13, v11
	v_cmp_lt_u32_e64 s[2:3], 31, v11
	s_nop 1
	v_cndmask_b32_e64 v12, 0, v12, s[2:3]
	v_add_u32_e32 v11, v12, v11
	v_and_b32_e32 v12, 0x7fffff, v7
	v_or_b32_e32 v26, 0x800000, v12
	v_mad_u64_u32 v[12:13], s[4:5], v26, s4, 0
	v_mov_b32_e32 v14, v13
	s_mov_b32 s4, 0x3c439041
	v_mad_u64_u32 v[16:17], s[4:5], v26, s4, v[14:15]
	v_mov_b32_e32 v14, v17
	s_mov_b32 s4, 0xdb629599
	;; [unrolled: 3-line block ×6, first 2 shown]
	v_mad_u64_u32 v[14:15], s[4:5], v26, s4, v[14:15]
	v_cndmask_b32_e32 v13, v24, v20, vcc
	v_cndmask_b32_e32 v14, v14, v22, vcc
	;; [unrolled: 1-line block ×3, first 2 shown]
	v_cndmask_b32_e64 v17, v14, v13, s[0:1]
	v_cndmask_b32_e64 v14, v15, v14, s[0:1]
	v_cndmask_b32_e32 v15, v22, v18, vcc
	v_cndmask_b32_e64 v13, v13, v15, s[0:1]
	v_cndmask_b32_e64 v14, v14, v17, s[2:3]
	;; [unrolled: 1-line block ×3, first 2 shown]
	v_sub_u32_e32 v19, 32, v11
	v_alignbit_b32 v21, v14, v17, v19
	v_cmp_eq_u32_e64 s[4:5], 0, v11
	v_cndmask_b32_e32 v12, v18, v12, vcc
	s_nop 0
	v_cndmask_b32_e64 v11, v21, v14, s[4:5]
	v_cndmask_b32_e32 v14, v20, v16, vcc
	v_cndmask_b32_e64 v15, v15, v14, s[0:1]
	v_cndmask_b32_e64 v13, v13, v15, s[2:3]
	v_alignbit_b32 v16, v17, v13, v19
	v_cndmask_b32_e64 v16, v16, v17, s[4:5]
	v_bfe_u32 v21, v11, 29, 1
	v_cndmask_b32_e64 v12, v14, v12, s[0:1]
	v_alignbit_b32 v17, v11, v16, 30
	v_sub_u32_e32 v22, 0, v21
	v_cndmask_b32_e64 v12, v15, v12, s[2:3]
	v_xor_b32_e32 v17, v17, v22
	v_alignbit_b32 v14, v13, v12, v19
	v_cndmask_b32_e64 v13, v14, v13, s[4:5]
	v_ffbh_u32_e32 v15, v17
	v_alignbit_b32 v14, v16, v13, 30
	v_min_u32_e32 v15, 32, v15
	v_alignbit_b32 v12, v13, v12, 30
	v_xor_b32_e32 v14, v14, v22
	v_sub_u32_e32 v16, 31, v15
	v_xor_b32_e32 v12, v12, v22
	v_alignbit_b32 v17, v17, v14, v16
	v_alignbit_b32 v12, v14, v12, v16
	;; [unrolled: 1-line block ×3, first 2 shown]
	v_ffbh_u32_e32 v14, v13
	v_min_u32_e32 v14, 32, v14
	v_lshrrev_b32_e32 v20, 29, v11
	v_not_b32_e32 v16, v14
	v_alignbit_b32 v12, v13, v12, v16
	v_lshlrev_b32_e32 v13, 31, v20
	v_or_b32_e32 v16, 0x33000000, v13
	v_add_lshl_u32 v14, v14, v15, 23
	v_lshrrev_b32_e32 v12, 9, v12
	v_sub_u32_e32 v14, v16, v14
	v_or_b32_e32 v13, 0.5, v13
	v_lshlrev_b32_e32 v15, 23, v15
	v_or_b32_e32 v12, v14, v12
	v_lshrrev_b32_e32 v14, 9, v17
	v_sub_u32_e32 v13, v13, v15
	v_or_b32_e32 v13, v14, v13
	s_mov_b32 s0, 0x3fc90fda
	v_mul_f32_e32 v14, 0x3fc90fda, v13
	v_fma_f32 v15, v13, s0, -v14
	v_fmamk_f32 v13, v13, 0x33a22168, v15
	v_fmac_f32_e32 v13, 0x3fc90fda, v12
	v_lshrrev_b32_e32 v11, 30, v11
	v_add_f32_e32 v13, v14, v13
	v_add_u32_e32 v12, v21, v11
	s_andn2_saveexec_b64 s[0:1], s[10:11]
	s_cbranch_execnz .LBB13_14
	s_branch .LBB13_15
.LBB13_13:
	s_andn2_saveexec_b64 s[0:1], s[10:11]
	s_cbranch_execz .LBB13_15
.LBB13_14:
	s_mov_b32 s2, 0x3f22f983
	v_mul_f32_e64 v11, |v6|, s2
	v_rndne_f32_e32 v11, v11
	s_mov_b32 s2, 0xbfc90fda
	v_cvt_i32_f32_e32 v12, v11
	v_fma_f32 v13, v11, s2, |v6|
	v_fmamk_f32 v13, v11, 0xb3a22168, v13
	v_fmamk_f32 v13, v11, 0xa7c234c4, v13
.LBB13_15:
	s_or_b64 exec, exec, s[0:1]
	s_mov_b32 s2, 0x40a00000
	v_div_scale_f32 v11, s[0:1], v2, v2, s2
	v_rcp_f32_e32 v14, v11
	v_div_scale_f32 v15, vcc, s2, v2, s2
	v_mov_b32_e32 v18, 0x42947983
	v_fma_f32 v16, -v11, v14, 1.0
	v_fmac_f32_e32 v14, v16, v14
	v_mul_f32_e32 v16, v15, v14
	v_fma_f32 v17, -v11, v16, v15
	v_fmac_f32_e32 v16, v17, v14
	v_fma_f32 v11, -v11, v16, v15
	v_div_fmas_f32 v11, v11, v14, v16
	v_div_fixup_f32 v11, v11, v2, s2
	v_mul_f32_e32 v14, v11, v11
	v_mov_b32_e32 v15, 0x3a47c962
	v_mov_b32_e32 v16, 0x3a15c4d9
	v_fmac_f32_e32 v15, 0, v14
	v_fmac_f32_e32 v16, 0, v14
	v_fmaak_f32 v15, v14, v15, 0x3d95ca45
	v_fmaak_f32 v16, v14, v16, 0x3d8cfeeb
	;; [unrolled: 1-line block ×8, first 2 shown]
	v_mov_b32_e32 v17, 0x3d513fd3
	v_fmaak_f32 v15, v14, v15, 0x40a6dd51
	v_fmaak_f32 v16, v14, v16, 0x40a6b6ea
	v_fmac_f32_e32 v17, 0, v14
	v_fma_f32 v16, v14, v16, 1.0
	v_fmaak_f32 v17, v14, v17, 0x409f6dae
	v_fmac_f32_e32 v18, 0, v14
	v_fma_f32 v15, v14, v15, 1.0
	v_fmaak_f32 v17, v14, v17, 0x4297a5cd
	v_fmaak_f32 v18, v14, v18, 0x44840e5d
	v_div_scale_f32 v19, s[0:1], v16, v16, v15
	v_fmaak_f32 v17, v14, v17, 0x43b763ca
	v_fmaak_f32 v18, v14, v18, 0x459bd349
	v_rcp_f32_e32 v20, v19
	v_fmaak_f32 v17, v14, v17, 0x4431b6ce
	v_fmaak_f32 v18, v14, v18, 0x46156947
	v_fmaak_f32 v17, v14, v17, 0x44155f56
	v_fmaak_f32 v18, v14, v18, 0x45f9e855
	v_fmaak_f32 v17, v14, v17, 0x4353b052
	v_fmaak_f32 v18, v14, v18, 0x4530a316
	v_fmaak_f32 v17, v14, v17, 0x41c9a7fa
	v_fmaak_f32 v14, v14, v18, 0x43a80bfb
	v_fma_f32 v18, -v19, v20, 1.0
	v_fmac_f32_e32 v20, v18, v20
	v_div_scale_f32 v18, vcc, v15, v16, v15
	v_mul_f32_e32 v21, v18, v20
	v_fma_f32 v22, -v19, v21, v18
	v_fmac_f32_e32 v21, v22, v20
	v_fma_f32 v18, -v19, v21, v18
	v_div_fmas_f32 v18, v18, v20, v21
	v_div_fixup_f32 v15, v18, v16, v15
	v_mul_f32_e32 v16, v9, v9
	v_mov_b32_e32 v18, 0x3c0881c4
	v_fmamk_f32 v19, v16, 0xb94c1982, v18
	v_fmaak_f32 v19, v16, v19, 0xbe2aaa9d
	v_mul_f32_e32 v19, v16, v19
	v_fmac_f32_e32 v9, v9, v19
	v_mov_b32_e32 v19, 0xbab64f3b
	v_fmamk_f32 v21, v16, 0x37d75334, v19
	v_fmaak_f32 v21, v16, v21, 0x3d2aabf7
	v_fmaak_f32 v21, v16, v21, 0xbf000004
	v_fma_f32 v16, v16, v21, 1.0
	v_and_b32_e32 v21, 1, v8
	v_lshlrev_b32_e32 v8, 30, v8
	v_cmp_eq_u32_e32 vcc, 0, v21
	v_and_b32_e32 v8, 0x80000000, v8
	v_xor_b32_e32 v7, v7, v6
	v_cndmask_b32_e32 v9, v16, v9, vcc
	v_xor_b32_e32 v7, v7, v8
	v_div_scale_f32 v8, s[0:1], v14, v14, v17
	v_xor_b32_e32 v7, v7, v9
	v_rcp_f32_e32 v9, v8
	s_movk_i32 s3, 0x1f8
	v_mov_b32_e32 v16, 0x7fc00000
	v_cmp_class_f32_e64 s[0:1], v6, s3
	v_mov_b32_e32 v20, 0xbe2aaa9d
	v_mov_b32_e32 v22, 0x3d2aabf7
	v_cndmask_b32_e64 v6, v16, v7, s[0:1]
	v_fma_f32 v7, -v8, v9, 1.0
	v_fmac_f32_e32 v9, v7, v9
	v_div_scale_f32 v7, vcc, v17, v14, v17
	v_mul_f32_e32 v21, v7, v9
	v_fma_f32 v24, -v8, v21, v7
	v_fmac_f32_e32 v21, v24, v9
	v_fma_f32 v7, -v8, v21, v7
	v_mul_f32_e32 v8, v13, v13
	v_fmac_f32_e32 v18, 0xb94c1982, v8
	v_fmac_f32_e32 v20, v8, v18
	;; [unrolled: 1-line block ×3, first 2 shown]
	v_mov_b32_e32 v23, 0xbf000004
	v_div_fmas_f32 v7, v7, v9, v21
	v_mul_f32_e32 v9, v8, v20
	v_fmac_f32_e32 v22, v8, v19
	v_fmac_f32_e32 v13, v13, v9
	v_fmac_f32_e32 v23, v8, v22
	v_and_b32_e32 v9, 1, v12
	v_fma_f32 v8, v8, v23, 1.0
	v_cmp_eq_u32_e32 vcc, 0, v9
	s_brev_b32 s2, 1
	v_lshlrev_b32_e32 v9, 30, v12
	v_cndmask_b32_e64 v8, -v13, v8, vcc
	v_bitop3_b32 v8, v9, v8, s2 bitop3:0x6c
	v_cndmask_b32_e64 v8, v16, v8, s[0:1]
	s_mov_b32 s0, 0xf800000
	v_mul_f32_e32 v9, 0x4f800000, v2
	v_cmp_gt_f32_e32 vcc, s0, v2
	v_div_fixup_f32 v7, v7, v14, v17
	v_mul_f32_e32 v7, v11, v7
	v_cndmask_b32_e32 v2, v2, v9, vcc
	v_sqrt_f32_e32 v9, v2
	v_mul_f32_e32 v7, v7, v8
	v_fmac_f32_e32 v7, v15, v6
	v_mul_f32_e32 v6, 0x3f4c422a, v7
	v_add_u32_e32 v7, -1, v9
	v_fma_f32 v8, -v7, v9, v2
	v_cmp_ge_f32_e64 s[0:1], 0, v8
	v_add_u32_e32 v8, 1, v9
	s_nop 0
	v_cndmask_b32_e64 v7, v9, v7, s[0:1]
	v_fma_f32 v9, -v8, v9, v2
	v_cmp_lt_f32_e64 s[0:1], 0, v9
	s_nop 1
	v_cndmask_b32_e64 v7, v7, v8, s[0:1]
	v_mul_f32_e32 v8, 0x37800000, v7
	v_cndmask_b32_e32 v7, v7, v8, vcc
	v_mov_b32_e32 v8, 0x260
	v_cmp_class_f32_e32 vcc, v2, v8
	s_nop 1
	v_cndmask_b32_e32 v2, v7, v2, vcc
	v_div_scale_f32 v7, s[0:1], v2, v2, v6
	v_rcp_f32_e32 v8, v7
	s_nop 0
	v_fma_f32 v9, -v7, v8, 1.0
	v_fmac_f32_e32 v8, v9, v8
	v_div_scale_f32 v9, vcc, v6, v2, v6
	v_mul_f32_e32 v11, v9, v8
	v_fma_f32 v12, -v7, v11, v9
	v_fmac_f32_e32 v11, v12, v8
	v_fma_f32 v7, -v7, v11, v9
	v_div_fmas_f32 v7, v7, v8, v11
	v_div_fixup_f32 v6, v7, v2, v6
.LBB13_16:
	s_or_b64 exec, exec, s[8:9]
	s_mov_b32 s0, 0x40a00000
	v_cmp_ge_f32_e32 vcc, s0, v3
	s_and_saveexec_b64 s[0:1], vcc
	s_xor_b64 s[2:3], exec, s[0:1]
	s_cbranch_execz .LBB13_22
; %bb.17:
	v_cmp_neq_f32_e32 vcc, 0, v3
	v_mov_b32_e32 v7, 0xff800000
	s_and_saveexec_b64 s[4:5], vcc
	s_cbranch_execz .LBB13_21
; %bb.18:
	v_cmp_nge_f32_e32 vcc, 0, v3
	v_mov_b32_e32 v7, 0x7fc00000
	s_and_saveexec_b64 s[8:9], vcc
	s_cbranch_execz .LBB13_20
; %bb.19:
	v_mul_f32_e32 v2, v3, v3
	v_mov_b32_e32 v7, 0x4414934d
	v_fmac_f32_e32 v7, 0, v2
	v_fmaak_f32 v7, v2, v7, 0x48660b06
	s_mov_b32 s0, 0x4e9695f3
	v_mul_f32_e32 v8, 0, v2
	v_mul_f32_e32 v9, v2, v7
	s_mov_b32 s1, 0x4c8c277d
	v_pk_add_f32 v[12:13], v[8:9], s[0:1]
	s_mov_b32 s0, 0xd316b96b
	s_mov_b32 s1, 0x508bc61d
	v_pk_fma_f32 v[12:13], v[2:3], v[12:13], s[0:1] op_sel_hi:[0,1,1]
	s_mov_b32 s0, 0x56d04aa6
	s_mov_b32 s1, 0x5461faf8
	v_pk_fma_f32 v[12:13], v[2:3], v[12:13], s[0:1] op_sel_hi:[0,1,1]
	;; [unrolled: 3-line block ×5, first 2 shown]
	v_div_scale_f32 v7, s[0:1], v13, v13, v12
	v_rcp_f32_e32 v11, v7
	s_mov_b32 s0, 0xce5691e2
	s_mov_b32 s1, 0x548a37dc
	v_fma_f32 v9, -v7, v11, 1.0
	v_fmac_f32_e32 v11, v9, v11
	v_div_scale_f32 v9, vcc, v12, v13, v12
	v_mul_f32_e32 v14, v9, v11
	v_fma_f32 v15, -v7, v14, v9
	v_fmac_f32_e32 v14, v15, v11
	v_fma_f32 v7, -v7, v14, v9
	v_mov_b32_e32 v9, 0x441b3589
	v_fmac_f32_e32 v9, 0, v2
	v_fmaak_f32 v9, v2, v9, 0x487af6d0
	v_fmaak_f32 v9, v2, v9, 0x4c9f4aa7
	;; [unrolled: 1-line block ×3, first 2 shown]
	v_mul_f32_e32 v9, v2, v9
	v_pk_add_f32 v[8:9], v[8:9], s[0:1]
	s_mov_b32 s0, 0x52d295d0
	s_mov_b32 s1, 0x58325852
	v_pk_fma_f32 v[8:9], v[2:3], v[8:9], s[0:1] op_sel_hi:[0,1,1]
	s_mov_b32 s0, 0xd6845497
	s_mov_b32 s1, 0x5b9f0600
	v_pk_fma_f32 v[8:9], v[2:3], v[8:9], s[0:1] op_sel_hi:[0,1,1]
	;; [unrolled: 3-line block ×3, first 2 shown]
	v_div_scale_f32 v15, s[0:1], v9, v9, v8
	v_rcp_f32_e32 v16, v15
	v_div_fmas_f32 v7, v7, v11, v14
	v_div_fixup_f32 v11, v7, v13, v12
	s_mov_b32 s0, 0xc244dfb3
	v_fma_f32 v7, -v15, v16, 1.0
	v_fmac_f32_e32 v16, v7, v16
	v_div_scale_f32 v7, vcc, v8, v9, v8
	v_mul_f32_e32 v12, v7, v16
	v_fma_f32 v13, -v15, v12, v7
	v_fmac_f32_e32 v12, v13, v16
	v_fma_f32 v7, -v15, v12, v7
	v_div_fmas_f32 v7, v7, v16, v12
	s_mov_b32 s1, 0xc16ae95a
	v_div_fixup_f32 v7, v7, v9, v8
	v_pk_add_f32 v[8:9], v[2:3], s[0:1] op_sel_hi:[0,1]
	s_mov_b32 s0, 0x800000
	v_cmp_gt_f32_e32 vcc, s0, v3
	v_mul_f32_e32 v7, v3, v7
	v_mul_f32_e32 v7, v9, v7
	v_cndmask_b32_e64 v2, 0, 32, vcc
	v_ldexp_f32 v2, v3, v2
	v_log_f32_e32 v2, v2
	v_mul_f32_e32 v7, v8, v7
	s_mov_b32 s0, 0x3f317217
	v_mov_b32_e32 v12, 0x41b17218
	v_mul_f32_e32 v8, 0x3f317217, v2
	v_fma_f32 v8, v2, s0, -v8
	v_fmamk_f32 v8, v2, 0x3377d1cf, v8
	s_mov_b32 s0, 0x7f800000
	v_fmac_f32_e32 v8, 0x3f317217, v2
	v_cmp_lt_f32_e64 s[0:1], |v2|, s0
	v_cndmask_b32_e32 v12, 0, v12, vcc
	s_nop 0
	v_cndmask_b32_e64 v2, v2, v8, s[0:1]
	v_div_scale_f32 v8, s[0:1], v3, v3, -1.0
	v_rcp_f32_e32 v9, v8
	v_sub_f32_e32 v2, v2, v12
	v_fma_f32 v12, -v8, v9, 1.0
	v_fmac_f32_e32 v9, v12, v9
	v_div_scale_f32 v12, vcc, -1.0, v3, -1.0
	v_mul_f32_e32 v13, v12, v9
	v_fma_f32 v14, -v8, v13, v12
	v_fmac_f32_e32 v13, v14, v9
	v_fma_f32 v8, -v8, v13, v12
	v_div_fmas_f32 v8, v8, v9, v13
	v_div_fixup_f32 v8, v8, v3, -1.0
	v_fmac_f32_e32 v8, v2, v7
	v_mul_f32_e32 v7, 0x3f22f983, v8
	v_fmac_f32_e32 v7, v3, v11
.LBB13_20:
	s_or_b64 exec, exec, s[8:9]
.LBB13_21:
	s_or_b64 exec, exec, s[4:5]
.LBB13_22:
	s_andn2_saveexec_b64 s[8:9], s[2:3]
	s_cbranch_execz .LBB13_32
; %bb.23:
	v_add_f32_e32 v2, 0xc016cbe4, v3
	v_and_b32_e32 v7, 0x7fffffff, v2
	s_brev_b32 s0, 18
	v_cmp_nlt_f32_e64 s[10:11], |v2|, s0
	v_lshrrev_b32_e32 v11, 23, v7
                                        ; implicit-def: $vgpr8
                                        ; implicit-def: $vgpr9
	s_and_saveexec_b64 s[0:1], s[10:11]
	s_xor_b64 s[12:13], exec, s[0:1]
	s_cbranch_execz .LBB13_25
; %bb.24:
	v_add_u32_e32 v8, 0xffffff88, v11
	v_not_b32_e32 v9, 63
	v_cmp_lt_u32_e32 vcc, 63, v8
	s_mov_b32 s4, 0xfe5163ab
	v_mov_b32_e32 v13, 0
	v_cndmask_b32_e32 v9, 0, v9, vcc
	v_add_u32_e32 v8, v9, v8
	v_not_b32_e32 v9, 31
	v_cmp_lt_u32_e64 s[0:1], 31, v8
	s_nop 1
	v_cndmask_b32_e64 v12, 0, v9, s[0:1]
	v_add_u32_e32 v8, v12, v8
	v_cmp_lt_u32_e64 s[2:3], 31, v8
	s_nop 1
	v_cndmask_b32_e64 v9, 0, v9, s[2:3]
	v_add_u32_e32 v24, v9, v8
	v_and_b32_e32 v8, 0x7fffff, v7
	v_or_b32_e32 v25, 0x800000, v8
	v_mad_u64_u32 v[8:9], s[4:5], v25, s4, 0
	v_mov_b32_e32 v12, v9
	s_mov_b32 s4, 0x3c439041
	v_mad_u64_u32 v[14:15], s[4:5], v25, s4, v[12:13]
	v_mov_b32_e32 v12, v15
	s_mov_b32 s4, 0xdb629599
	;; [unrolled: 3-line block ×6, first 2 shown]
	v_mad_u64_u32 v[12:13], s[4:5], v25, s4, v[12:13]
	v_cndmask_b32_e32 v9, v22, v18, vcc
	v_cndmask_b32_e32 v12, v12, v20, vcc
	;; [unrolled: 1-line block ×3, first 2 shown]
	v_cndmask_b32_e64 v15, v12, v9, s[0:1]
	v_cndmask_b32_e64 v12, v13, v12, s[0:1]
	v_cndmask_b32_e32 v13, v20, v16, vcc
	v_cndmask_b32_e64 v9, v9, v13, s[0:1]
	v_cndmask_b32_e32 v14, v18, v14, vcc
	v_cndmask_b32_e64 v12, v12, v15, s[2:3]
	v_cndmask_b32_e64 v15, v15, v9, s[2:3]
	v_sub_u32_e32 v17, 32, v24
	v_cndmask_b32_e64 v13, v13, v14, s[0:1]
	v_alignbit_b32 v19, v12, v15, v17
	v_cmp_eq_u32_e64 s[4:5], 0, v24
	v_cndmask_b32_e64 v9, v9, v13, s[2:3]
	v_alignbit_b32 v18, v15, v9, v17
	v_cndmask_b32_e64 v12, v19, v12, s[4:5]
	v_cndmask_b32_e32 v8, v16, v8, vcc
	v_cndmask_b32_e64 v15, v18, v15, s[4:5]
	v_bfe_u32 v20, v12, 29, 1
	v_cndmask_b32_e64 v8, v14, v8, s[0:1]
	v_alignbit_b32 v18, v12, v15, 30
	v_sub_u32_e32 v21, 0, v20
	v_cndmask_b32_e64 v8, v13, v8, s[2:3]
	v_xor_b32_e32 v18, v18, v21
	v_alignbit_b32 v13, v9, v8, v17
	v_cndmask_b32_e64 v9, v13, v9, s[4:5]
	v_ffbh_u32_e32 v14, v18
	v_alignbit_b32 v13, v15, v9, 30
	v_min_u32_e32 v14, 32, v14
	v_alignbit_b32 v8, v9, v8, 30
	v_xor_b32_e32 v13, v13, v21
	v_sub_u32_e32 v15, 31, v14
	v_xor_b32_e32 v8, v8, v21
	v_alignbit_b32 v16, v18, v13, v15
	v_alignbit_b32 v8, v13, v8, v15
	;; [unrolled: 1-line block ×3, first 2 shown]
	v_ffbh_u32_e32 v13, v9
	v_min_u32_e32 v13, 32, v13
	v_lshrrev_b32_e32 v19, 29, v12
	v_not_b32_e32 v15, v13
	v_alignbit_b32 v8, v9, v8, v15
	v_lshlrev_b32_e32 v9, 31, v19
	v_or_b32_e32 v15, 0x33000000, v9
	v_add_lshl_u32 v13, v13, v14, 23
	v_lshrrev_b32_e32 v8, 9, v8
	v_sub_u32_e32 v13, v15, v13
	v_or_b32_e32 v9, 0.5, v9
	v_lshlrev_b32_e32 v14, 23, v14
	v_or_b32_e32 v8, v13, v8
	v_lshrrev_b32_e32 v13, 9, v16
	v_sub_u32_e32 v9, v9, v14
	v_or_b32_e32 v9, v13, v9
	s_mov_b32 s0, 0x3fc90fda
	v_mul_f32_e32 v13, 0x3fc90fda, v9
	v_fma_f32 v14, v9, s0, -v13
	v_fmamk_f32 v9, v9, 0x33a22168, v14
	v_fmac_f32_e32 v9, 0x3fc90fda, v8
	v_lshrrev_b32_e32 v8, 30, v12
	v_add_f32_e32 v9, v13, v9
	v_add_u32_e32 v8, v20, v8
	s_andn2_saveexec_b64 s[0:1], s[12:13]
	s_cbranch_execz .LBB13_27
	s_branch .LBB13_26
.LBB13_25:
	s_andn2_saveexec_b64 s[0:1], s[12:13]
	s_cbranch_execz .LBB13_27
.LBB13_26:
	s_mov_b32 s2, 0x3f22f983
	v_mul_f32_e64 v8, |v2|, s2
	v_rndne_f32_e32 v9, v8
	s_mov_b32 s2, 0xbfc90fda
	v_cvt_i32_f32_e32 v8, v9
	v_fma_f32 v12, v9, s2, |v2|
	v_fmamk_f32 v12, v9, 0xb3a22168, v12
	v_fmamk_f32 v9, v9, 0xa7c234c4, v12
.LBB13_27:
	s_or_b64 exec, exec, s[0:1]
                                        ; implicit-def: $vgpr12
                                        ; implicit-def: $vgpr13
	s_and_saveexec_b64 s[0:1], s[10:11]
	s_xor_b64 s[10:11], exec, s[0:1]
	s_cbranch_execz .LBB13_29
; %bb.28:
	v_add_u32_e32 v11, 0xffffff88, v11
	v_not_b32_e32 v12, 63
	v_cmp_lt_u32_e32 vcc, 63, v11
	s_mov_b32 s4, 0xfe5163ab
	v_mov_b32_e32 v15, 0
	v_cndmask_b32_e32 v12, 0, v12, vcc
	v_add_u32_e32 v11, v12, v11
	v_not_b32_e32 v12, 31
	v_cmp_lt_u32_e64 s[0:1], 31, v11
	s_nop 1
	v_cndmask_b32_e64 v13, 0, v12, s[0:1]
	v_add_u32_e32 v11, v13, v11
	v_cmp_lt_u32_e64 s[2:3], 31, v11
	s_nop 1
	v_cndmask_b32_e64 v12, 0, v12, s[2:3]
	v_add_u32_e32 v11, v12, v11
	v_and_b32_e32 v12, 0x7fffff, v7
	v_or_b32_e32 v26, 0x800000, v12
	v_mad_u64_u32 v[12:13], s[4:5], v26, s4, 0
	v_mov_b32_e32 v14, v13
	s_mov_b32 s4, 0x3c439041
	v_mad_u64_u32 v[16:17], s[4:5], v26, s4, v[14:15]
	v_mov_b32_e32 v14, v17
	s_mov_b32 s4, 0xdb629599
	;; [unrolled: 3-line block ×6, first 2 shown]
	v_mad_u64_u32 v[14:15], s[4:5], v26, s4, v[14:15]
	v_cndmask_b32_e32 v13, v24, v20, vcc
	v_cndmask_b32_e32 v14, v14, v22, vcc
	;; [unrolled: 1-line block ×3, first 2 shown]
	v_cndmask_b32_e64 v17, v14, v13, s[0:1]
	v_cndmask_b32_e64 v14, v15, v14, s[0:1]
	v_cndmask_b32_e32 v15, v22, v18, vcc
	v_cndmask_b32_e64 v13, v13, v15, s[0:1]
	v_cndmask_b32_e64 v14, v14, v17, s[2:3]
	;; [unrolled: 1-line block ×3, first 2 shown]
	v_sub_u32_e32 v19, 32, v11
	v_alignbit_b32 v21, v14, v17, v19
	v_cmp_eq_u32_e64 s[4:5], 0, v11
	v_cndmask_b32_e32 v12, v18, v12, vcc
	s_nop 0
	v_cndmask_b32_e64 v11, v21, v14, s[4:5]
	v_cndmask_b32_e32 v14, v20, v16, vcc
	v_cndmask_b32_e64 v15, v15, v14, s[0:1]
	v_cndmask_b32_e64 v13, v13, v15, s[2:3]
	v_alignbit_b32 v16, v17, v13, v19
	v_cndmask_b32_e64 v16, v16, v17, s[4:5]
	v_bfe_u32 v21, v11, 29, 1
	v_cndmask_b32_e64 v12, v14, v12, s[0:1]
	v_alignbit_b32 v17, v11, v16, 30
	v_sub_u32_e32 v22, 0, v21
	v_cndmask_b32_e64 v12, v15, v12, s[2:3]
	v_xor_b32_e32 v17, v17, v22
	v_alignbit_b32 v14, v13, v12, v19
	v_cndmask_b32_e64 v13, v14, v13, s[4:5]
	v_ffbh_u32_e32 v15, v17
	v_alignbit_b32 v14, v16, v13, 30
	v_min_u32_e32 v15, 32, v15
	v_alignbit_b32 v12, v13, v12, 30
	v_xor_b32_e32 v14, v14, v22
	v_sub_u32_e32 v16, 31, v15
	v_xor_b32_e32 v12, v12, v22
	v_alignbit_b32 v17, v17, v14, v16
	v_alignbit_b32 v12, v14, v12, v16
	;; [unrolled: 1-line block ×3, first 2 shown]
	v_ffbh_u32_e32 v14, v13
	v_min_u32_e32 v14, 32, v14
	v_lshrrev_b32_e32 v20, 29, v11
	v_not_b32_e32 v16, v14
	v_alignbit_b32 v12, v13, v12, v16
	v_lshlrev_b32_e32 v13, 31, v20
	v_or_b32_e32 v16, 0x33000000, v13
	v_add_lshl_u32 v14, v14, v15, 23
	v_lshrrev_b32_e32 v12, 9, v12
	v_sub_u32_e32 v14, v16, v14
	v_or_b32_e32 v13, 0.5, v13
	v_lshlrev_b32_e32 v15, 23, v15
	v_or_b32_e32 v12, v14, v12
	v_lshrrev_b32_e32 v14, 9, v17
	v_sub_u32_e32 v13, v13, v15
	v_or_b32_e32 v13, v14, v13
	s_mov_b32 s0, 0x3fc90fda
	v_mul_f32_e32 v14, 0x3fc90fda, v13
	v_fma_f32 v15, v13, s0, -v14
	v_fmamk_f32 v13, v13, 0x33a22168, v15
	v_fmac_f32_e32 v13, 0x3fc90fda, v12
	v_lshrrev_b32_e32 v11, 30, v11
	v_add_f32_e32 v13, v14, v13
	v_add_u32_e32 v12, v21, v11
	s_andn2_saveexec_b64 s[0:1], s[10:11]
	s_cbranch_execnz .LBB13_30
	s_branch .LBB13_31
.LBB13_29:
	s_andn2_saveexec_b64 s[0:1], s[10:11]
	s_cbranch_execz .LBB13_31
.LBB13_30:
	s_mov_b32 s2, 0x3f22f983
	v_mul_f32_e64 v11, |v2|, s2
	v_rndne_f32_e32 v11, v11
	s_mov_b32 s2, 0xbfc90fda
	v_cvt_i32_f32_e32 v12, v11
	v_fma_f32 v13, v11, s2, |v2|
	v_fmamk_f32 v13, v11, 0xb3a22168, v13
	v_fmamk_f32 v13, v11, 0xa7c234c4, v13
.LBB13_31:
	s_or_b64 exec, exec, s[0:1]
	s_mov_b32 s2, 0x40a00000
	v_div_scale_f32 v11, s[0:1], v3, v3, s2
	v_rcp_f32_e32 v14, v11
	v_div_scale_f32 v15, vcc, s2, v3, s2
	v_mov_b32_e32 v18, 0x42947983
	v_fma_f32 v16, -v11, v14, 1.0
	v_fmac_f32_e32 v14, v16, v14
	v_mul_f32_e32 v16, v15, v14
	v_fma_f32 v17, -v11, v16, v15
	v_fmac_f32_e32 v16, v17, v14
	v_fma_f32 v11, -v11, v16, v15
	v_div_fmas_f32 v11, v11, v14, v16
	v_div_fixup_f32 v11, v11, v3, s2
	v_mul_f32_e32 v14, v11, v11
	v_mov_b32_e32 v15, 0x3a47c962
	v_mov_b32_e32 v16, 0x3a15c4d9
	v_fmac_f32_e32 v15, 0, v14
	v_fmac_f32_e32 v16, 0, v14
	v_fmaak_f32 v15, v14, v15, 0x3d95ca45
	v_fmaak_f32 v16, v14, v16, 0x3d8cfeeb
	;; [unrolled: 1-line block ×8, first 2 shown]
	v_mov_b32_e32 v17, 0x3d513fd3
	v_fmaak_f32 v15, v14, v15, 0x40a6dd51
	v_fmaak_f32 v16, v14, v16, 0x40a6b6ea
	v_fmac_f32_e32 v17, 0, v14
	v_fma_f32 v16, v14, v16, 1.0
	v_fmaak_f32 v17, v14, v17, 0x409f6dae
	v_fmac_f32_e32 v18, 0, v14
	v_fma_f32 v15, v14, v15, 1.0
	v_fmaak_f32 v17, v14, v17, 0x4297a5cd
	v_fmaak_f32 v18, v14, v18, 0x44840e5d
	v_div_scale_f32 v19, s[0:1], v16, v16, v15
	v_fmaak_f32 v17, v14, v17, 0x43b763ca
	v_fmaak_f32 v18, v14, v18, 0x459bd349
	v_rcp_f32_e32 v20, v19
	v_fmaak_f32 v17, v14, v17, 0x4431b6ce
	v_fmaak_f32 v18, v14, v18, 0x46156947
	;; [unrolled: 1-line block ×8, first 2 shown]
	v_fma_f32 v18, -v19, v20, 1.0
	v_fmac_f32_e32 v20, v18, v20
	v_div_scale_f32 v18, vcc, v15, v16, v15
	v_mul_f32_e32 v21, v18, v20
	v_fma_f32 v22, -v19, v21, v18
	v_fmac_f32_e32 v21, v22, v20
	v_fma_f32 v18, -v19, v21, v18
	v_div_fmas_f32 v18, v18, v20, v21
	v_div_fixup_f32 v15, v18, v16, v15
	v_mul_f32_e32 v16, v9, v9
	v_mov_b32_e32 v18, 0x3c0881c4
	v_fmamk_f32 v19, v16, 0xb94c1982, v18
	v_fmaak_f32 v19, v16, v19, 0xbe2aaa9d
	v_mul_f32_e32 v19, v16, v19
	v_fmac_f32_e32 v9, v9, v19
	v_mov_b32_e32 v19, 0xbab64f3b
	v_fmamk_f32 v21, v16, 0x37d75334, v19
	v_fmaak_f32 v21, v16, v21, 0x3d2aabf7
	v_fmaak_f32 v21, v16, v21, 0xbf000004
	v_fma_f32 v16, v16, v21, 1.0
	v_and_b32_e32 v21, 1, v8
	v_lshlrev_b32_e32 v8, 30, v8
	v_cmp_eq_u32_e32 vcc, 0, v21
	v_and_b32_e32 v8, 0x80000000, v8
	v_xor_b32_e32 v7, v7, v2
	v_cndmask_b32_e32 v9, v16, v9, vcc
	v_xor_b32_e32 v7, v7, v8
	v_div_scale_f32 v8, s[0:1], v14, v14, v17
	v_xor_b32_e32 v7, v7, v9
	v_rcp_f32_e32 v9, v8
	s_movk_i32 s3, 0x1f8
	v_mov_b32_e32 v16, 0x7fc00000
	v_cmp_class_f32_e64 s[0:1], v2, s3
	v_mov_b32_e32 v20, 0xbe2aaa9d
	v_mov_b32_e32 v22, 0x3d2aabf7
	v_cndmask_b32_e64 v2, v16, v7, s[0:1]
	v_fma_f32 v7, -v8, v9, 1.0
	v_fmac_f32_e32 v9, v7, v9
	v_div_scale_f32 v7, vcc, v17, v14, v17
	v_mul_f32_e32 v21, v7, v9
	v_fma_f32 v24, -v8, v21, v7
	v_fmac_f32_e32 v21, v24, v9
	v_fma_f32 v7, -v8, v21, v7
	v_mul_f32_e32 v8, v13, v13
	v_fmac_f32_e32 v18, 0xb94c1982, v8
	v_fmac_f32_e32 v20, v8, v18
	;; [unrolled: 1-line block ×3, first 2 shown]
	v_mov_b32_e32 v23, 0xbf000004
	v_div_fmas_f32 v7, v7, v9, v21
	v_mul_f32_e32 v9, v8, v20
	v_fmac_f32_e32 v22, v8, v19
	v_fmac_f32_e32 v13, v13, v9
	;; [unrolled: 1-line block ×3, first 2 shown]
	v_and_b32_e32 v9, 1, v12
	v_fma_f32 v8, v8, v23, 1.0
	v_cmp_eq_u32_e32 vcc, 0, v9
	s_brev_b32 s2, 1
	v_lshlrev_b32_e32 v9, 30, v12
	v_cndmask_b32_e64 v8, -v13, v8, vcc
	v_bitop3_b32 v8, v9, v8, s2 bitop3:0x6c
	v_cndmask_b32_e64 v8, v16, v8, s[0:1]
	s_mov_b32 s0, 0xf800000
	v_mul_f32_e32 v9, 0x4f800000, v3
	v_cmp_gt_f32_e32 vcc, s0, v3
	v_div_fixup_f32 v7, v7, v14, v17
	v_mul_f32_e32 v7, v11, v7
	v_cndmask_b32_e32 v3, v3, v9, vcc
	v_sqrt_f32_e32 v9, v3
	v_mul_f32_e32 v7, v7, v8
	v_fmac_f32_e32 v7, v15, v2
	v_mul_f32_e32 v2, 0x3f4c422a, v7
	v_add_u32_e32 v7, -1, v9
	v_fma_f32 v8, -v7, v9, v3
	v_cmp_ge_f32_e64 s[0:1], 0, v8
	v_add_u32_e32 v8, 1, v9
	s_nop 0
	v_cndmask_b32_e64 v7, v9, v7, s[0:1]
	v_fma_f32 v9, -v8, v9, v3
	v_cmp_lt_f32_e64 s[0:1], 0, v9
	s_nop 1
	v_cndmask_b32_e64 v7, v7, v8, s[0:1]
	v_mul_f32_e32 v8, 0x37800000, v7
	v_cndmask_b32_e32 v7, v7, v8, vcc
	v_mov_b32_e32 v8, 0x260
	v_cmp_class_f32_e32 vcc, v3, v8
	s_nop 1
	v_cndmask_b32_e32 v3, v7, v3, vcc
	v_div_scale_f32 v7, s[0:1], v3, v3, v2
	v_rcp_f32_e32 v8, v7
	s_nop 0
	v_fma_f32 v9, -v7, v8, 1.0
	v_fmac_f32_e32 v8, v9, v8
	v_div_scale_f32 v9, vcc, v2, v3, v2
	v_mul_f32_e32 v11, v9, v8
	v_fma_f32 v12, -v7, v11, v9
	v_fmac_f32_e32 v11, v12, v8
	v_fma_f32 v7, -v7, v11, v9
	v_div_fmas_f32 v7, v7, v8, v11
	v_div_fixup_f32 v7, v7, v3, v2
.LBB13_32:
	s_or_b64 exec, exec, s[8:9]
	s_mov_b32 s0, 0x40a00000
	v_cmp_ge_f32_e32 vcc, s0, v4
	s_and_saveexec_b64 s[0:1], vcc
	s_xor_b64 s[2:3], exec, s[0:1]
	s_cbranch_execz .LBB13_38
; %bb.33:
	v_cmp_neq_f32_e32 vcc, 0, v4
	v_mov_b32_e32 v8, 0xff800000
	s_and_saveexec_b64 s[4:5], vcc
	s_cbranch_execz .LBB13_37
; %bb.34:
	v_cmp_nge_f32_e32 vcc, 0, v4
	v_mov_b32_e32 v8, 0x7fc00000
	s_and_saveexec_b64 s[8:9], vcc
	s_cbranch_execz .LBB13_36
; %bb.35:
	v_mul_f32_e32 v2, v4, v4
	v_mov_b32_e32 v3, 0x4414934d
	v_fmac_f32_e32 v3, 0, v2
	v_fmaak_f32 v3, v2, v3, 0x48660b06
	s_mov_b32 s0, 0x4e9695f3
	v_mul_f32_e32 v8, 0, v2
	v_mul_f32_e32 v9, v2, v3
	s_mov_b32 s1, 0x4c8c277d
	v_pk_add_f32 v[12:13], v[8:9], s[0:1]
	s_mov_b32 s0, 0xd316b96b
	s_mov_b32 s1, 0x508bc61d
	v_pk_fma_f32 v[12:13], v[2:3], v[12:13], s[0:1] op_sel_hi:[0,1,1]
	s_mov_b32 s0, 0x56d04aa6
	s_mov_b32 s1, 0x5461faf8
	v_pk_fma_f32 v[12:13], v[2:3], v[12:13], s[0:1] op_sel_hi:[0,1,1]
	;; [unrolled: 3-line block ×5, first 2 shown]
	v_div_scale_f32 v3, s[0:1], v13, v13, v12
	v_rcp_f32_e32 v11, v3
	s_mov_b32 s0, 0xce5691e2
	s_mov_b32 s1, 0x548a37dc
	v_fma_f32 v9, -v3, v11, 1.0
	v_fmac_f32_e32 v11, v9, v11
	v_div_scale_f32 v9, vcc, v12, v13, v12
	v_mul_f32_e32 v14, v9, v11
	v_fma_f32 v15, -v3, v14, v9
	v_fmac_f32_e32 v14, v15, v11
	v_fma_f32 v3, -v3, v14, v9
	v_mov_b32_e32 v9, 0x441b3589
	v_fmac_f32_e32 v9, 0, v2
	v_fmaak_f32 v9, v2, v9, 0x487af6d0
	v_fmaak_f32 v9, v2, v9, 0x4c9f4aa7
	;; [unrolled: 1-line block ×3, first 2 shown]
	v_mul_f32_e32 v9, v2, v9
	v_pk_add_f32 v[8:9], v[8:9], s[0:1]
	s_mov_b32 s0, 0x52d295d0
	s_mov_b32 s1, 0x58325852
	v_pk_fma_f32 v[8:9], v[2:3], v[8:9], s[0:1] op_sel_hi:[0,1,1]
	s_mov_b32 s0, 0xd6845497
	s_mov_b32 s1, 0x5b9f0600
	v_pk_fma_f32 v[8:9], v[2:3], v[8:9], s[0:1] op_sel_hi:[0,1,1]
	;; [unrolled: 3-line block ×3, first 2 shown]
	v_div_scale_f32 v15, s[0:1], v9, v9, v8
	v_rcp_f32_e32 v16, v15
	v_div_fmas_f32 v3, v3, v11, v14
	v_div_fixup_f32 v11, v3, v13, v12
	s_mov_b32 s0, 0xc244dfb3
	v_fma_f32 v3, -v15, v16, 1.0
	v_fmac_f32_e32 v16, v3, v16
	v_div_scale_f32 v3, vcc, v8, v9, v8
	v_mul_f32_e32 v12, v3, v16
	v_fma_f32 v13, -v15, v12, v3
	v_fmac_f32_e32 v12, v13, v16
	v_fma_f32 v3, -v15, v12, v3
	v_div_fmas_f32 v3, v3, v16, v12
	v_div_fixup_f32 v3, v3, v9, v8
	s_mov_b32 s1, 0xc16ae95a
	v_mul_f32_e32 v8, v4, v3
	v_pk_add_f32 v[2:3], v[2:3], s[0:1] op_sel_hi:[0,1]
	s_mov_b32 s0, 0x800000
	v_cmp_gt_f32_e32 vcc, s0, v4
	v_mul_f32_e32 v3, v3, v8
	v_mul_f32_e32 v2, v2, v3
	v_cndmask_b32_e64 v9, 0, 32, vcc
	v_ldexp_f32 v9, v4, v9
	v_log_f32_e32 v9, v9
	s_mov_b32 s0, 0x3f317217
	v_mov_b32_e32 v12, 0x41b17218
	v_cndmask_b32_e32 v12, 0, v12, vcc
	v_mul_f32_e32 v3, 0x3f317217, v9
	v_fma_f32 v3, v9, s0, -v3
	v_fmamk_f32 v3, v9, 0x3377d1cf, v3
	s_mov_b32 s0, 0x7f800000
	v_fmac_f32_e32 v3, 0x3f317217, v9
	v_cmp_lt_f32_e64 s[0:1], |v9|, s0
	s_nop 1
	v_cndmask_b32_e64 v3, v9, v3, s[0:1]
	v_div_scale_f32 v8, s[0:1], v4, v4, -1.0
	v_rcp_f32_e32 v9, v8
	v_sub_f32_e32 v3, v3, v12
	v_fma_f32 v12, -v8, v9, 1.0
	v_fmac_f32_e32 v9, v12, v9
	v_div_scale_f32 v12, vcc, -1.0, v4, -1.0
	v_mul_f32_e32 v13, v12, v9
	v_fma_f32 v14, -v8, v13, v12
	v_fmac_f32_e32 v13, v14, v9
	v_fma_f32 v8, -v8, v13, v12
	v_div_fmas_f32 v8, v8, v9, v13
	v_div_fixup_f32 v8, v8, v4, -1.0
	v_fmac_f32_e32 v8, v3, v2
	v_mul_f32_e32 v8, 0x3f22f983, v8
	v_fmac_f32_e32 v8, v4, v11
.LBB13_36:
	s_or_b64 exec, exec, s[8:9]
.LBB13_37:
	s_or_b64 exec, exec, s[4:5]
.LBB13_38:
	s_andn2_saveexec_b64 s[8:9], s[2:3]
	s_cbranch_execz .LBB13_48
; %bb.39:
	v_add_f32_e32 v2, 0xc016cbe4, v4
	v_and_b32_e32 v3, 0x7fffffff, v2
	s_brev_b32 s0, 18
	v_cmp_nlt_f32_e64 s[10:11], |v2|, s0
	v_lshrrev_b32_e32 v11, 23, v3
                                        ; implicit-def: $vgpr8
                                        ; implicit-def: $vgpr9
	s_and_saveexec_b64 s[0:1], s[10:11]
	s_xor_b64 s[12:13], exec, s[0:1]
	s_cbranch_execz .LBB13_41
; %bb.40:
	v_add_u32_e32 v8, 0xffffff88, v11
	v_not_b32_e32 v9, 63
	v_cmp_lt_u32_e32 vcc, 63, v8
	s_mov_b32 s4, 0xfe5163ab
	v_mov_b32_e32 v13, 0
	v_cndmask_b32_e32 v9, 0, v9, vcc
	v_add_u32_e32 v8, v9, v8
	v_not_b32_e32 v9, 31
	v_cmp_lt_u32_e64 s[0:1], 31, v8
	s_nop 1
	v_cndmask_b32_e64 v12, 0, v9, s[0:1]
	v_add_u32_e32 v8, v12, v8
	v_cmp_lt_u32_e64 s[2:3], 31, v8
	s_nop 1
	v_cndmask_b32_e64 v9, 0, v9, s[2:3]
	v_add_u32_e32 v24, v9, v8
	v_and_b32_e32 v8, 0x7fffff, v3
	v_or_b32_e32 v25, 0x800000, v8
	v_mad_u64_u32 v[8:9], s[4:5], v25, s4, 0
	v_mov_b32_e32 v12, v9
	s_mov_b32 s4, 0x3c439041
	v_mad_u64_u32 v[14:15], s[4:5], v25, s4, v[12:13]
	v_mov_b32_e32 v12, v15
	s_mov_b32 s4, 0xdb629599
	;; [unrolled: 3-line block ×6, first 2 shown]
	v_mad_u64_u32 v[12:13], s[4:5], v25, s4, v[12:13]
	v_cndmask_b32_e32 v9, v22, v18, vcc
	v_cndmask_b32_e32 v12, v12, v20, vcc
	;; [unrolled: 1-line block ×3, first 2 shown]
	v_cndmask_b32_e64 v15, v12, v9, s[0:1]
	v_cndmask_b32_e64 v12, v13, v12, s[0:1]
	v_cndmask_b32_e32 v13, v20, v16, vcc
	v_cndmask_b32_e64 v9, v9, v13, s[0:1]
	v_cndmask_b32_e32 v14, v18, v14, vcc
	v_cndmask_b32_e64 v12, v12, v15, s[2:3]
	v_cndmask_b32_e64 v15, v15, v9, s[2:3]
	v_sub_u32_e32 v17, 32, v24
	v_cndmask_b32_e64 v13, v13, v14, s[0:1]
	v_alignbit_b32 v19, v12, v15, v17
	v_cmp_eq_u32_e64 s[4:5], 0, v24
	v_cndmask_b32_e64 v9, v9, v13, s[2:3]
	v_alignbit_b32 v18, v15, v9, v17
	v_cndmask_b32_e64 v12, v19, v12, s[4:5]
	v_cndmask_b32_e32 v8, v16, v8, vcc
	v_cndmask_b32_e64 v15, v18, v15, s[4:5]
	v_bfe_u32 v20, v12, 29, 1
	v_cndmask_b32_e64 v8, v14, v8, s[0:1]
	v_alignbit_b32 v18, v12, v15, 30
	v_sub_u32_e32 v21, 0, v20
	v_cndmask_b32_e64 v8, v13, v8, s[2:3]
	v_xor_b32_e32 v18, v18, v21
	v_alignbit_b32 v13, v9, v8, v17
	v_cndmask_b32_e64 v9, v13, v9, s[4:5]
	v_ffbh_u32_e32 v14, v18
	v_alignbit_b32 v13, v15, v9, 30
	v_min_u32_e32 v14, 32, v14
	v_alignbit_b32 v8, v9, v8, 30
	v_xor_b32_e32 v13, v13, v21
	v_sub_u32_e32 v15, 31, v14
	v_xor_b32_e32 v8, v8, v21
	v_alignbit_b32 v16, v18, v13, v15
	v_alignbit_b32 v8, v13, v8, v15
	v_alignbit_b32 v9, v16, v8, 9
	v_ffbh_u32_e32 v13, v9
	v_min_u32_e32 v13, 32, v13
	v_lshrrev_b32_e32 v19, 29, v12
	v_not_b32_e32 v15, v13
	v_alignbit_b32 v8, v9, v8, v15
	v_lshlrev_b32_e32 v9, 31, v19
	v_or_b32_e32 v15, 0x33000000, v9
	v_add_lshl_u32 v13, v13, v14, 23
	v_lshrrev_b32_e32 v8, 9, v8
	v_sub_u32_e32 v13, v15, v13
	v_or_b32_e32 v9, 0.5, v9
	v_lshlrev_b32_e32 v14, 23, v14
	v_or_b32_e32 v8, v13, v8
	v_lshrrev_b32_e32 v13, 9, v16
	v_sub_u32_e32 v9, v9, v14
	v_or_b32_e32 v9, v13, v9
	s_mov_b32 s0, 0x3fc90fda
	v_mul_f32_e32 v13, 0x3fc90fda, v9
	v_fma_f32 v14, v9, s0, -v13
	v_fmamk_f32 v9, v9, 0x33a22168, v14
	v_fmac_f32_e32 v9, 0x3fc90fda, v8
	v_lshrrev_b32_e32 v8, 30, v12
	v_add_f32_e32 v9, v13, v9
	v_add_u32_e32 v8, v20, v8
	s_andn2_saveexec_b64 s[0:1], s[12:13]
	s_cbranch_execz .LBB13_43
	s_branch .LBB13_42
.LBB13_41:
	s_andn2_saveexec_b64 s[0:1], s[12:13]
	s_cbranch_execz .LBB13_43
.LBB13_42:
	s_mov_b32 s2, 0x3f22f983
	v_mul_f32_e64 v8, |v2|, s2
	v_rndne_f32_e32 v9, v8
	s_mov_b32 s2, 0xbfc90fda
	v_cvt_i32_f32_e32 v8, v9
	v_fma_f32 v12, v9, s2, |v2|
	v_fmamk_f32 v12, v9, 0xb3a22168, v12
	v_fmamk_f32 v9, v9, 0xa7c234c4, v12
.LBB13_43:
	s_or_b64 exec, exec, s[0:1]
                                        ; implicit-def: $vgpr12
                                        ; implicit-def: $vgpr13
	s_and_saveexec_b64 s[0:1], s[10:11]
	s_xor_b64 s[10:11], exec, s[0:1]
	s_cbranch_execz .LBB13_45
; %bb.44:
	v_add_u32_e32 v11, 0xffffff88, v11
	v_not_b32_e32 v12, 63
	v_cmp_lt_u32_e32 vcc, 63, v11
	s_mov_b32 s4, 0xfe5163ab
	v_mov_b32_e32 v15, 0
	v_cndmask_b32_e32 v12, 0, v12, vcc
	v_add_u32_e32 v11, v12, v11
	v_not_b32_e32 v12, 31
	v_cmp_lt_u32_e64 s[0:1], 31, v11
	s_nop 1
	v_cndmask_b32_e64 v13, 0, v12, s[0:1]
	v_add_u32_e32 v11, v13, v11
	v_cmp_lt_u32_e64 s[2:3], 31, v11
	s_nop 1
	v_cndmask_b32_e64 v12, 0, v12, s[2:3]
	v_add_u32_e32 v11, v12, v11
	v_and_b32_e32 v12, 0x7fffff, v3
	v_or_b32_e32 v26, 0x800000, v12
	v_mad_u64_u32 v[12:13], s[4:5], v26, s4, 0
	v_mov_b32_e32 v14, v13
	s_mov_b32 s4, 0x3c439041
	v_mad_u64_u32 v[16:17], s[4:5], v26, s4, v[14:15]
	v_mov_b32_e32 v14, v17
	s_mov_b32 s4, 0xdb629599
	;; [unrolled: 3-line block ×6, first 2 shown]
	v_mad_u64_u32 v[14:15], s[4:5], v26, s4, v[14:15]
	v_cndmask_b32_e32 v13, v24, v20, vcc
	v_cndmask_b32_e32 v14, v14, v22, vcc
	v_cndmask_b32_e32 v15, v15, v24, vcc
	v_cndmask_b32_e64 v17, v14, v13, s[0:1]
	v_cndmask_b32_e64 v14, v15, v14, s[0:1]
	v_cndmask_b32_e32 v15, v22, v18, vcc
	v_cndmask_b32_e64 v13, v13, v15, s[0:1]
	v_cndmask_b32_e64 v14, v14, v17, s[2:3]
	;; [unrolled: 1-line block ×3, first 2 shown]
	v_sub_u32_e32 v19, 32, v11
	v_alignbit_b32 v21, v14, v17, v19
	v_cmp_eq_u32_e64 s[4:5], 0, v11
	v_cndmask_b32_e32 v12, v18, v12, vcc
	s_nop 0
	v_cndmask_b32_e64 v11, v21, v14, s[4:5]
	v_cndmask_b32_e32 v14, v20, v16, vcc
	v_cndmask_b32_e64 v15, v15, v14, s[0:1]
	v_cndmask_b32_e64 v13, v13, v15, s[2:3]
	v_alignbit_b32 v16, v17, v13, v19
	v_cndmask_b32_e64 v16, v16, v17, s[4:5]
	v_bfe_u32 v21, v11, 29, 1
	v_cndmask_b32_e64 v12, v14, v12, s[0:1]
	v_alignbit_b32 v17, v11, v16, 30
	v_sub_u32_e32 v22, 0, v21
	v_cndmask_b32_e64 v12, v15, v12, s[2:3]
	v_xor_b32_e32 v17, v17, v22
	v_alignbit_b32 v14, v13, v12, v19
	v_cndmask_b32_e64 v13, v14, v13, s[4:5]
	v_ffbh_u32_e32 v15, v17
	v_alignbit_b32 v14, v16, v13, 30
	v_min_u32_e32 v15, 32, v15
	v_alignbit_b32 v12, v13, v12, 30
	v_xor_b32_e32 v14, v14, v22
	v_sub_u32_e32 v16, 31, v15
	v_xor_b32_e32 v12, v12, v22
	v_alignbit_b32 v17, v17, v14, v16
	v_alignbit_b32 v12, v14, v12, v16
	;; [unrolled: 1-line block ×3, first 2 shown]
	v_ffbh_u32_e32 v14, v13
	v_min_u32_e32 v14, 32, v14
	v_lshrrev_b32_e32 v20, 29, v11
	v_not_b32_e32 v16, v14
	v_alignbit_b32 v12, v13, v12, v16
	v_lshlrev_b32_e32 v13, 31, v20
	v_or_b32_e32 v16, 0x33000000, v13
	v_add_lshl_u32 v14, v14, v15, 23
	v_lshrrev_b32_e32 v12, 9, v12
	v_sub_u32_e32 v14, v16, v14
	v_or_b32_e32 v13, 0.5, v13
	v_lshlrev_b32_e32 v15, 23, v15
	v_or_b32_e32 v12, v14, v12
	v_lshrrev_b32_e32 v14, 9, v17
	v_sub_u32_e32 v13, v13, v15
	v_or_b32_e32 v13, v14, v13
	s_mov_b32 s0, 0x3fc90fda
	v_mul_f32_e32 v14, 0x3fc90fda, v13
	v_fma_f32 v15, v13, s0, -v14
	v_fmamk_f32 v13, v13, 0x33a22168, v15
	v_fmac_f32_e32 v13, 0x3fc90fda, v12
	v_lshrrev_b32_e32 v11, 30, v11
	v_add_f32_e32 v13, v14, v13
	v_add_u32_e32 v12, v21, v11
	s_andn2_saveexec_b64 s[0:1], s[10:11]
	s_cbranch_execnz .LBB13_46
	s_branch .LBB13_47
.LBB13_45:
	s_andn2_saveexec_b64 s[0:1], s[10:11]
	s_cbranch_execz .LBB13_47
.LBB13_46:
	s_mov_b32 s2, 0x3f22f983
	v_mul_f32_e64 v11, |v2|, s2
	v_rndne_f32_e32 v11, v11
	s_mov_b32 s2, 0xbfc90fda
	v_cvt_i32_f32_e32 v12, v11
	v_fma_f32 v13, v11, s2, |v2|
	v_fmamk_f32 v13, v11, 0xb3a22168, v13
	v_fmamk_f32 v13, v11, 0xa7c234c4, v13
.LBB13_47:
	s_or_b64 exec, exec, s[0:1]
	s_mov_b32 s2, 0x40a00000
	v_div_scale_f32 v11, s[0:1], v4, v4, s2
	v_rcp_f32_e32 v14, v11
	v_div_scale_f32 v15, vcc, s2, v4, s2
	v_mov_b32_e32 v18, 0x42947983
	v_fma_f32 v16, -v11, v14, 1.0
	v_fmac_f32_e32 v14, v16, v14
	v_mul_f32_e32 v16, v15, v14
	v_fma_f32 v17, -v11, v16, v15
	v_fmac_f32_e32 v16, v17, v14
	v_fma_f32 v11, -v11, v16, v15
	v_div_fmas_f32 v11, v11, v14, v16
	v_div_fixup_f32 v11, v11, v4, s2
	v_mul_f32_e32 v14, v11, v11
	v_mov_b32_e32 v15, 0x3a47c962
	v_mov_b32_e32 v16, 0x3a15c4d9
	v_fmac_f32_e32 v15, 0, v14
	v_fmac_f32_e32 v16, 0, v14
	v_fmaak_f32 v15, v14, v15, 0x3d95ca45
	v_fmaak_f32 v16, v14, v16, 0x3d8cfeeb
	;; [unrolled: 1-line block ×8, first 2 shown]
	v_mov_b32_e32 v17, 0x3d513fd3
	v_fmaak_f32 v15, v14, v15, 0x40a6dd51
	v_fmaak_f32 v16, v14, v16, 0x40a6b6ea
	v_fmac_f32_e32 v17, 0, v14
	v_fma_f32 v16, v14, v16, 1.0
	v_fmaak_f32 v17, v14, v17, 0x409f6dae
	v_fmac_f32_e32 v18, 0, v14
	v_fma_f32 v15, v14, v15, 1.0
	v_fmaak_f32 v17, v14, v17, 0x4297a5cd
	v_fmaak_f32 v18, v14, v18, 0x44840e5d
	v_div_scale_f32 v19, s[0:1], v16, v16, v15
	v_fmaak_f32 v17, v14, v17, 0x43b763ca
	v_fmaak_f32 v18, v14, v18, 0x459bd349
	v_rcp_f32_e32 v20, v19
	v_fmaak_f32 v17, v14, v17, 0x4431b6ce
	v_fmaak_f32 v18, v14, v18, 0x46156947
	;; [unrolled: 1-line block ×8, first 2 shown]
	v_fma_f32 v18, -v19, v20, 1.0
	v_fmac_f32_e32 v20, v18, v20
	v_div_scale_f32 v18, vcc, v15, v16, v15
	v_mul_f32_e32 v21, v18, v20
	v_fma_f32 v22, -v19, v21, v18
	v_fmac_f32_e32 v21, v22, v20
	v_fma_f32 v18, -v19, v21, v18
	v_div_fmas_f32 v18, v18, v20, v21
	v_div_fixup_f32 v15, v18, v16, v15
	v_mul_f32_e32 v16, v9, v9
	v_mov_b32_e32 v18, 0x3c0881c4
	v_fmamk_f32 v19, v16, 0xb94c1982, v18
	v_fmaak_f32 v19, v16, v19, 0xbe2aaa9d
	v_mul_f32_e32 v19, v16, v19
	v_fmac_f32_e32 v9, v9, v19
	v_mov_b32_e32 v19, 0xbab64f3b
	v_fmamk_f32 v21, v16, 0x37d75334, v19
	v_fmaak_f32 v21, v16, v21, 0x3d2aabf7
	v_fmaak_f32 v21, v16, v21, 0xbf000004
	v_fma_f32 v16, v16, v21, 1.0
	v_and_b32_e32 v21, 1, v8
	v_lshlrev_b32_e32 v8, 30, v8
	v_cmp_eq_u32_e32 vcc, 0, v21
	v_and_b32_e32 v8, 0x80000000, v8
	v_xor_b32_e32 v3, v3, v2
	v_cndmask_b32_e32 v9, v16, v9, vcc
	v_xor_b32_e32 v3, v3, v8
	v_div_scale_f32 v8, s[0:1], v14, v14, v17
	v_xor_b32_e32 v3, v3, v9
	v_rcp_f32_e32 v9, v8
	s_movk_i32 s3, 0x1f8
	v_mov_b32_e32 v16, 0x7fc00000
	v_cmp_class_f32_e64 s[0:1], v2, s3
	v_mov_b32_e32 v20, 0xbe2aaa9d
	v_mov_b32_e32 v22, 0x3d2aabf7
	v_cndmask_b32_e64 v2, v16, v3, s[0:1]
	v_fma_f32 v3, -v8, v9, 1.0
	v_fmac_f32_e32 v9, v3, v9
	v_div_scale_f32 v3, vcc, v17, v14, v17
	v_mul_f32_e32 v21, v3, v9
	v_fma_f32 v24, -v8, v21, v3
	v_fmac_f32_e32 v21, v24, v9
	v_fma_f32 v3, -v8, v21, v3
	v_mul_f32_e32 v8, v13, v13
	v_fmac_f32_e32 v18, 0xb94c1982, v8
	v_fmac_f32_e32 v20, v8, v18
	;; [unrolled: 1-line block ×3, first 2 shown]
	v_mov_b32_e32 v23, 0xbf000004
	v_div_fmas_f32 v3, v3, v9, v21
	v_mul_f32_e32 v9, v8, v20
	v_fmac_f32_e32 v22, v8, v19
	v_fmac_f32_e32 v13, v13, v9
	;; [unrolled: 1-line block ×3, first 2 shown]
	v_and_b32_e32 v9, 1, v12
	v_fma_f32 v8, v8, v23, 1.0
	v_cmp_eq_u32_e32 vcc, 0, v9
	s_brev_b32 s2, 1
	v_lshlrev_b32_e32 v9, 30, v12
	v_cndmask_b32_e64 v8, -v13, v8, vcc
	v_bitop3_b32 v8, v9, v8, s2 bitop3:0x6c
	v_cndmask_b32_e64 v8, v16, v8, s[0:1]
	s_mov_b32 s0, 0xf800000
	v_mul_f32_e32 v9, 0x4f800000, v4
	v_cmp_gt_f32_e32 vcc, s0, v4
	v_div_fixup_f32 v3, v3, v14, v17
	v_mul_f32_e32 v3, v11, v3
	v_cndmask_b32_e32 v4, v4, v9, vcc
	v_sqrt_f32_e32 v9, v4
	v_mul_f32_e32 v3, v3, v8
	v_fmac_f32_e32 v3, v15, v2
	v_mul_f32_e32 v2, 0x3f4c422a, v3
	v_add_u32_e32 v3, -1, v9
	v_fma_f32 v8, -v3, v9, v4
	v_cmp_ge_f32_e64 s[0:1], 0, v8
	v_add_u32_e32 v8, 1, v9
	s_nop 0
	v_cndmask_b32_e64 v3, v9, v3, s[0:1]
	v_fma_f32 v9, -v8, v9, v4
	v_cmp_lt_f32_e64 s[0:1], 0, v9
	s_nop 1
	v_cndmask_b32_e64 v3, v3, v8, s[0:1]
	v_mul_f32_e32 v8, 0x37800000, v3
	v_cndmask_b32_e32 v3, v3, v8, vcc
	v_mov_b32_e32 v8, 0x260
	v_cmp_class_f32_e32 vcc, v4, v8
	s_nop 1
	v_cndmask_b32_e32 v3, v3, v4, vcc
	v_div_scale_f32 v4, s[0:1], v3, v3, v2
	v_rcp_f32_e32 v8, v4
	s_nop 0
	v_fma_f32 v9, -v4, v8, 1.0
	v_fmac_f32_e32 v8, v9, v8
	v_div_scale_f32 v9, vcc, v2, v3, v2
	v_mul_f32_e32 v11, v9, v8
	v_fma_f32 v12, -v4, v11, v9
	v_fmac_f32_e32 v11, v12, v8
	v_fma_f32 v4, -v4, v11, v9
	v_div_fmas_f32 v4, v4, v8, v11
	v_div_fixup_f32 v8, v4, v3, v2
.LBB13_48:
	s_or_b64 exec, exec, s[8:9]
	s_mov_b32 s0, 0x40a00000
	v_cmp_ge_f32_e32 vcc, s0, v5
	s_and_saveexec_b64 s[0:1], vcc
	s_xor_b64 s[2:3], exec, s[0:1]
	s_cbranch_execz .LBB13_54
; %bb.49:
	v_cmp_neq_f32_e32 vcc, 0, v5
	v_mov_b32_e32 v9, 0xff800000
	s_and_saveexec_b64 s[4:5], vcc
	s_cbranch_execz .LBB13_53
; %bb.50:
	v_cmp_nge_f32_e32 vcc, 0, v5
	v_mov_b32_e32 v9, 0x7fc00000
	s_and_saveexec_b64 s[8:9], vcc
	s_cbranch_execz .LBB13_52
; %bb.51:
	v_mul_f32_e32 v2, v5, v5
	v_mov_b32_e32 v3, 0x4414934d
	v_fmac_f32_e32 v3, 0, v2
	v_fmaak_f32 v3, v2, v3, 0x48660b06
	s_mov_b32 s0, 0x4e9695f3
	v_mul_f32_e32 v12, 0, v2
	v_mul_f32_e32 v13, v2, v3
	s_mov_b32 s1, 0x4c8c277d
	v_pk_add_f32 v[14:15], v[12:13], s[0:1]
	s_mov_b32 s0, 0xd316b96b
	s_mov_b32 s1, 0x508bc61d
	v_pk_fma_f32 v[14:15], v[2:3], v[14:15], s[0:1] op_sel_hi:[0,1,1]
	s_mov_b32 s0, 0x56d04aa6
	s_mov_b32 s1, 0x5461faf8
	v_pk_fma_f32 v[14:15], v[2:3], v[14:15], s[0:1] op_sel_hi:[0,1,1]
	s_mov_b32 s0, 0xd9e700d2
	s_mov_b32 s1, 0x580d1937
	v_pk_fma_f32 v[14:15], v[2:3], v[14:15], s[0:1] op_sel_hi:[0,1,1]
	s_mov_b32 s0, 0x5c33cd68
	s_mov_b32 s1, 0x5b741f1e
	v_pk_fma_f32 v[14:15], v[2:3], v[14:15], s[0:1] op_sel_hi:[0,1,1]
	s_mov_b32 s0, 0xdd2cf20b
	s_mov_b32 s1, 0x5e5c878d
	v_pk_fma_f32 v[14:15], v[2:3], v[14:15], s[0:1] op_sel_hi:[0,1,1]
	v_div_scale_f32 v3, s[0:1], v15, v15, v14
	v_rcp_f32_e32 v4, v3
	s_mov_b32 s0, 0xce5691e2
	s_mov_b32 s1, 0x548a37dc
	v_fma_f32 v9, -v3, v4, 1.0
	v_fmac_f32_e32 v4, v9, v4
	v_div_scale_f32 v9, vcc, v14, v15, v14
	v_mul_f32_e32 v11, v9, v4
	v_fma_f32 v13, -v3, v11, v9
	v_fmac_f32_e32 v11, v13, v4
	v_fma_f32 v3, -v3, v11, v9
	v_mov_b32_e32 v9, 0x441b3589
	v_fmac_f32_e32 v9, 0, v2
	v_fmaak_f32 v9, v2, v9, 0x487af6d0
	v_fmaak_f32 v9, v2, v9, 0x4c9f4aa7
	;; [unrolled: 1-line block ×3, first 2 shown]
	v_mul_f32_e32 v13, v2, v9
	v_pk_add_f32 v[12:13], v[12:13], s[0:1]
	s_mov_b32 s0, 0x52d295d0
	s_mov_b32 s1, 0x58325852
	v_pk_fma_f32 v[12:13], v[2:3], v[12:13], s[0:1] op_sel_hi:[0,1,1]
	s_mov_b32 s0, 0xd6845497
	s_mov_b32 s1, 0x5b9f0600
	v_pk_fma_f32 v[12:13], v[2:3], v[12:13], s[0:1] op_sel_hi:[0,1,1]
	;; [unrolled: 3-line block ×3, first 2 shown]
	v_div_scale_f32 v9, s[0:1], v13, v13, v12
	v_rcp_f32_e32 v16, v9
	v_div_fmas_f32 v3, v3, v4, v11
	v_div_fixup_f32 v4, v3, v15, v14
	s_mov_b32 s0, 0xc244dfb3
	v_fma_f32 v3, -v9, v16, 1.0
	v_fmac_f32_e32 v16, v3, v16
	v_div_scale_f32 v3, vcc, v12, v13, v12
	v_mul_f32_e32 v11, v3, v16
	v_fma_f32 v14, -v9, v11, v3
	v_fmac_f32_e32 v11, v14, v16
	v_fma_f32 v3, -v9, v11, v3
	v_div_fmas_f32 v3, v3, v16, v11
	v_div_fixup_f32 v3, v3, v13, v12
	s_mov_b32 s1, 0xc16ae95a
	v_mul_f32_e32 v9, v5, v3
	v_pk_add_f32 v[2:3], v[2:3], s[0:1] op_sel_hi:[0,1]
	s_mov_b32 s0, 0x800000
	v_cmp_gt_f32_e32 vcc, s0, v5
	v_mul_f32_e32 v3, v3, v9
	v_mul_f32_e32 v2, v2, v3
	v_cndmask_b32_e64 v11, 0, 32, vcc
	v_ldexp_f32 v11, v5, v11
	v_log_f32_e32 v11, v11
	s_mov_b32 s0, 0x3f317217
	v_mov_b32_e32 v12, 0x41b17218
	v_cndmask_b32_e32 v12, 0, v12, vcc
	v_mul_f32_e32 v3, 0x3f317217, v11
	v_fma_f32 v3, v11, s0, -v3
	v_fmamk_f32 v3, v11, 0x3377d1cf, v3
	s_mov_b32 s0, 0x7f800000
	v_fmac_f32_e32 v3, 0x3f317217, v11
	v_cmp_lt_f32_e64 s[0:1], |v11|, s0
	s_nop 1
	v_cndmask_b32_e64 v3, v11, v3, s[0:1]
	v_div_scale_f32 v9, s[0:1], v5, v5, -1.0
	v_rcp_f32_e32 v11, v9
	v_sub_f32_e32 v3, v3, v12
	v_fma_f32 v12, -v9, v11, 1.0
	v_fmac_f32_e32 v11, v12, v11
	v_div_scale_f32 v12, vcc, -1.0, v5, -1.0
	v_mul_f32_e32 v13, v12, v11
	v_fma_f32 v14, -v9, v13, v12
	v_fmac_f32_e32 v13, v14, v11
	v_fma_f32 v9, -v9, v13, v12
	v_div_fmas_f32 v9, v9, v11, v13
	v_div_fixup_f32 v9, v9, v5, -1.0
	v_fmac_f32_e32 v9, v3, v2
	v_mul_f32_e32 v9, 0x3f22f983, v9
	v_fmac_f32_e32 v9, v5, v4
.LBB13_52:
	s_or_b64 exec, exec, s[8:9]
.LBB13_53:
	s_or_b64 exec, exec, s[4:5]
                                        ; implicit-def: $vgpr2_vgpr3_vgpr4_vgpr5
.LBB13_54:
	s_andn2_saveexec_b64 s[8:9], s[2:3]
	s_cbranch_execz .LBB13_64
; %bb.55:
	v_add_f32_e32 v2, 0xc016cbe4, v5
	v_and_b32_e32 v3, 0x7fffffff, v2
	s_brev_b32 s0, 18
	v_cmp_nlt_f32_e64 s[10:11], |v2|, s0
	v_lshrrev_b32_e32 v11, 23, v3
                                        ; implicit-def: $vgpr4
                                        ; implicit-def: $vgpr9
	s_and_saveexec_b64 s[0:1], s[10:11]
	s_xor_b64 s[12:13], exec, s[0:1]
	s_cbranch_execz .LBB13_57
; %bb.56:
	v_add_u32_e32 v4, 0xffffff88, v11
	v_not_b32_e32 v9, 63
	v_cmp_lt_u32_e32 vcc, 63, v4
	s_mov_b32 s4, 0xfe5163ab
	v_mov_b32_e32 v15, 0
	v_cndmask_b32_e32 v9, 0, v9, vcc
	v_add_u32_e32 v4, v9, v4
	v_not_b32_e32 v9, 31
	v_cmp_lt_u32_e64 s[0:1], 31, v4
	s_nop 1
	v_cndmask_b32_e64 v12, 0, v9, s[0:1]
	v_add_u32_e32 v4, v12, v4
	v_cmp_lt_u32_e64 s[2:3], 31, v4
	s_nop 1
	v_cndmask_b32_e64 v9, 0, v9, s[2:3]
	v_add_u32_e32 v4, v9, v4
	v_and_b32_e32 v9, 0x7fffff, v3
	v_or_b32_e32 v9, 0x800000, v9
	v_mad_u64_u32 v[12:13], s[4:5], v9, s4, 0
	v_mov_b32_e32 v14, v13
	s_mov_b32 s4, 0x3c439041
	v_mad_u64_u32 v[16:17], s[4:5], v9, s4, v[14:15]
	v_mov_b32_e32 v14, v17
	s_mov_b32 s4, 0xdb629599
	;; [unrolled: 3-line block ×6, first 2 shown]
	v_mad_u64_u32 v[14:15], s[4:5], v9, s4, v[14:15]
	v_cndmask_b32_e32 v13, v24, v20, vcc
	v_cndmask_b32_e32 v9, v14, v22, vcc
	;; [unrolled: 1-line block ×3, first 2 shown]
	v_cndmask_b32_e64 v14, v9, v13, s[0:1]
	v_cndmask_b32_e64 v9, v15, v9, s[0:1]
	v_cndmask_b32_e32 v15, v22, v18, vcc
	v_cndmask_b32_e64 v13, v13, v15, s[0:1]
	v_cndmask_b32_e64 v9, v9, v14, s[2:3]
	;; [unrolled: 1-line block ×3, first 2 shown]
	v_sub_u32_e32 v17, 32, v4
	v_alignbit_b32 v19, v9, v14, v17
	v_cmp_eq_u32_e64 s[4:5], 0, v4
	v_cndmask_b32_e32 v12, v18, v12, vcc
	s_nop 0
	v_cndmask_b32_e64 v4, v19, v9, s[4:5]
	v_cndmask_b32_e32 v9, v20, v16, vcc
	v_cndmask_b32_e64 v15, v15, v9, s[0:1]
	v_cndmask_b32_e64 v13, v13, v15, s[2:3]
	v_alignbit_b32 v16, v14, v13, v17
	v_cndmask_b32_e64 v9, v9, v12, s[0:1]
	v_cndmask_b32_e64 v14, v16, v14, s[4:5]
	v_bfe_u32 v20, v4, 29, 1
	v_cndmask_b32_e64 v9, v15, v9, s[2:3]
	v_alignbit_b32 v16, v4, v14, 30
	v_sub_u32_e32 v21, 0, v20
	v_alignbit_b32 v12, v13, v9, v17
	v_xor_b32_e32 v16, v16, v21
	v_cndmask_b32_e64 v12, v12, v13, s[4:5]
	v_alignbit_b32 v13, v14, v12, 30
	v_ffbh_u32_e32 v14, v16
	v_min_u32_e32 v14, 32, v14
	v_alignbit_b32 v9, v12, v9, 30
	v_xor_b32_e32 v13, v13, v21
	v_sub_u32_e32 v15, 31, v14
	v_xor_b32_e32 v9, v9, v21
	v_alignbit_b32 v16, v16, v13, v15
	v_alignbit_b32 v9, v13, v9, v15
	;; [unrolled: 1-line block ×3, first 2 shown]
	v_ffbh_u32_e32 v13, v12
	v_min_u32_e32 v13, 32, v13
	v_lshrrev_b32_e32 v19, 29, v4
	v_not_b32_e32 v15, v13
	v_alignbit_b32 v9, v12, v9, v15
	v_lshlrev_b32_e32 v12, 31, v19
	v_or_b32_e32 v15, 0x33000000, v12
	v_add_lshl_u32 v13, v13, v14, 23
	v_lshrrev_b32_e32 v9, 9, v9
	v_sub_u32_e32 v13, v15, v13
	v_or_b32_e32 v12, 0.5, v12
	v_lshlrev_b32_e32 v14, 23, v14
	v_or_b32_e32 v9, v13, v9
	v_lshrrev_b32_e32 v13, 9, v16
	v_sub_u32_e32 v12, v12, v14
	v_or_b32_e32 v12, v13, v12
	s_mov_b32 s0, 0x3fc90fda
	v_mul_f32_e32 v13, 0x3fc90fda, v12
	v_fma_f32 v14, v12, s0, -v13
	v_fmamk_f32 v12, v12, 0x33a22168, v14
	v_fmac_f32_e32 v12, 0x3fc90fda, v9
	v_lshrrev_b32_e32 v4, 30, v4
	v_add_f32_e32 v9, v13, v12
	v_add_u32_e32 v4, v20, v4
	s_andn2_saveexec_b64 s[0:1], s[12:13]
	s_cbranch_execz .LBB13_59
	s_branch .LBB13_58
.LBB13_57:
	s_andn2_saveexec_b64 s[0:1], s[12:13]
	s_cbranch_execz .LBB13_59
.LBB13_58:
	s_mov_b32 s2, 0x3f22f983
	v_mul_f32_e64 v4, |v2|, s2
	v_rndne_f32_e32 v9, v4
	s_mov_b32 s2, 0xbfc90fda
	v_cvt_i32_f32_e32 v4, v9
	v_fma_f32 v12, v9, s2, |v2|
	v_fmamk_f32 v12, v9, 0xb3a22168, v12
	v_fmamk_f32 v9, v9, 0xa7c234c4, v12
.LBB13_59:
	s_or_b64 exec, exec, s[0:1]
                                        ; implicit-def: $vgpr12
                                        ; implicit-def: $vgpr13
	s_and_saveexec_b64 s[0:1], s[10:11]
	s_xor_b64 s[10:11], exec, s[0:1]
	s_cbranch_execz .LBB13_61
; %bb.60:
	v_add_u32_e32 v11, 0xffffff88, v11
	v_not_b32_e32 v12, 63
	v_cmp_lt_u32_e32 vcc, 63, v11
	s_mov_b32 s4, 0xfe5163ab
	v_mov_b32_e32 v15, 0
	v_cndmask_b32_e32 v12, 0, v12, vcc
	v_add_u32_e32 v11, v12, v11
	v_not_b32_e32 v12, 31
	v_cmp_lt_u32_e64 s[0:1], 31, v11
	s_nop 1
	v_cndmask_b32_e64 v13, 0, v12, s[0:1]
	v_add_u32_e32 v11, v13, v11
	v_cmp_lt_u32_e64 s[2:3], 31, v11
	s_nop 1
	v_cndmask_b32_e64 v12, 0, v12, s[2:3]
	v_add_u32_e32 v11, v12, v11
	v_and_b32_e32 v12, 0x7fffff, v3
	v_or_b32_e32 v26, 0x800000, v12
	v_mad_u64_u32 v[12:13], s[4:5], v26, s4, 0
	v_mov_b32_e32 v14, v13
	s_mov_b32 s4, 0x3c439041
	v_mad_u64_u32 v[16:17], s[4:5], v26, s4, v[14:15]
	v_mov_b32_e32 v14, v17
	s_mov_b32 s4, 0xdb629599
	;; [unrolled: 3-line block ×6, first 2 shown]
	v_mad_u64_u32 v[14:15], s[4:5], v26, s4, v[14:15]
	v_cndmask_b32_e32 v13, v24, v20, vcc
	v_cndmask_b32_e32 v14, v14, v22, vcc
	;; [unrolled: 1-line block ×3, first 2 shown]
	v_cndmask_b32_e64 v17, v14, v13, s[0:1]
	v_cndmask_b32_e64 v14, v15, v14, s[0:1]
	v_cndmask_b32_e32 v15, v22, v18, vcc
	v_cndmask_b32_e64 v13, v13, v15, s[0:1]
	v_cndmask_b32_e64 v14, v14, v17, s[2:3]
	;; [unrolled: 1-line block ×3, first 2 shown]
	v_sub_u32_e32 v19, 32, v11
	v_alignbit_b32 v21, v14, v17, v19
	v_cmp_eq_u32_e64 s[4:5], 0, v11
	v_cndmask_b32_e32 v12, v18, v12, vcc
	s_nop 0
	v_cndmask_b32_e64 v11, v21, v14, s[4:5]
	v_cndmask_b32_e32 v14, v20, v16, vcc
	v_cndmask_b32_e64 v15, v15, v14, s[0:1]
	v_cndmask_b32_e64 v13, v13, v15, s[2:3]
	v_alignbit_b32 v16, v17, v13, v19
	v_cndmask_b32_e64 v16, v16, v17, s[4:5]
	v_bfe_u32 v21, v11, 29, 1
	v_cndmask_b32_e64 v12, v14, v12, s[0:1]
	v_alignbit_b32 v17, v11, v16, 30
	v_sub_u32_e32 v22, 0, v21
	v_cndmask_b32_e64 v12, v15, v12, s[2:3]
	v_xor_b32_e32 v17, v17, v22
	v_alignbit_b32 v14, v13, v12, v19
	v_cndmask_b32_e64 v13, v14, v13, s[4:5]
	v_ffbh_u32_e32 v15, v17
	v_alignbit_b32 v14, v16, v13, 30
	v_min_u32_e32 v15, 32, v15
	v_alignbit_b32 v12, v13, v12, 30
	v_xor_b32_e32 v14, v14, v22
	v_sub_u32_e32 v16, 31, v15
	v_xor_b32_e32 v12, v12, v22
	v_alignbit_b32 v17, v17, v14, v16
	v_alignbit_b32 v12, v14, v12, v16
	v_alignbit_b32 v13, v17, v12, 9
	v_ffbh_u32_e32 v14, v13
	v_min_u32_e32 v14, 32, v14
	v_lshrrev_b32_e32 v20, 29, v11
	v_not_b32_e32 v16, v14
	v_alignbit_b32 v12, v13, v12, v16
	v_lshlrev_b32_e32 v13, 31, v20
	v_or_b32_e32 v16, 0x33000000, v13
	v_add_lshl_u32 v14, v14, v15, 23
	v_lshrrev_b32_e32 v12, 9, v12
	v_sub_u32_e32 v14, v16, v14
	v_or_b32_e32 v13, 0.5, v13
	v_lshlrev_b32_e32 v15, 23, v15
	v_or_b32_e32 v12, v14, v12
	v_lshrrev_b32_e32 v14, 9, v17
	v_sub_u32_e32 v13, v13, v15
	v_or_b32_e32 v13, v14, v13
	s_mov_b32 s0, 0x3fc90fda
	v_mul_f32_e32 v14, 0x3fc90fda, v13
	v_fma_f32 v15, v13, s0, -v14
	v_fmamk_f32 v13, v13, 0x33a22168, v15
	v_fmac_f32_e32 v13, 0x3fc90fda, v12
	v_lshrrev_b32_e32 v11, 30, v11
	v_add_f32_e32 v13, v14, v13
	v_add_u32_e32 v12, v21, v11
	s_andn2_saveexec_b64 s[0:1], s[10:11]
	s_cbranch_execnz .LBB13_62
	s_branch .LBB13_63
.LBB13_61:
	s_andn2_saveexec_b64 s[0:1], s[10:11]
	s_cbranch_execz .LBB13_63
.LBB13_62:
	s_mov_b32 s2, 0x3f22f983
	v_mul_f32_e64 v11, |v2|, s2
	v_rndne_f32_e32 v11, v11
	s_mov_b32 s2, 0xbfc90fda
	v_cvt_i32_f32_e32 v12, v11
	v_fma_f32 v13, v11, s2, |v2|
	v_fmamk_f32 v13, v11, 0xb3a22168, v13
	v_fmamk_f32 v13, v11, 0xa7c234c4, v13
.LBB13_63:
	s_or_b64 exec, exec, s[0:1]
	s_mov_b32 s2, 0x40a00000
	v_div_scale_f32 v11, s[0:1], v5, v5, s2
	v_rcp_f32_e32 v14, v11
	v_div_scale_f32 v15, vcc, s2, v5, s2
	v_mov_b32_e32 v18, 0x42947983
	v_fma_f32 v16, -v11, v14, 1.0
	v_fmac_f32_e32 v14, v16, v14
	v_mul_f32_e32 v16, v15, v14
	v_fma_f32 v17, -v11, v16, v15
	v_fmac_f32_e32 v16, v17, v14
	v_fma_f32 v11, -v11, v16, v15
	v_div_fmas_f32 v11, v11, v14, v16
	v_div_fixup_f32 v11, v11, v5, s2
	v_mul_f32_e32 v14, v11, v11
	v_mov_b32_e32 v15, 0x3a47c962
	v_mov_b32_e32 v16, 0x3a15c4d9
	v_fmac_f32_e32 v15, 0, v14
	v_fmac_f32_e32 v16, 0, v14
	v_fmaak_f32 v15, v14, v15, 0x3d95ca45
	v_fmaak_f32 v16, v14, v16, 0x3d8cfeeb
	;; [unrolled: 1-line block ×8, first 2 shown]
	v_mov_b32_e32 v17, 0x3d513fd3
	v_fmaak_f32 v15, v14, v15, 0x40a6dd51
	v_fmaak_f32 v16, v14, v16, 0x40a6b6ea
	v_fmac_f32_e32 v17, 0, v14
	v_fma_f32 v16, v14, v16, 1.0
	v_fmaak_f32 v17, v14, v17, 0x409f6dae
	v_fmac_f32_e32 v18, 0, v14
	v_fma_f32 v15, v14, v15, 1.0
	v_fmaak_f32 v17, v14, v17, 0x4297a5cd
	v_fmaak_f32 v18, v14, v18, 0x44840e5d
	v_div_scale_f32 v19, s[0:1], v16, v16, v15
	v_fmaak_f32 v17, v14, v17, 0x43b763ca
	v_fmaak_f32 v18, v14, v18, 0x459bd349
	v_rcp_f32_e32 v20, v19
	v_fmaak_f32 v17, v14, v17, 0x4431b6ce
	v_fmaak_f32 v18, v14, v18, 0x46156947
	;; [unrolled: 1-line block ×8, first 2 shown]
	v_fma_f32 v18, -v19, v20, 1.0
	v_fmac_f32_e32 v20, v18, v20
	v_div_scale_f32 v18, vcc, v15, v16, v15
	v_mul_f32_e32 v21, v18, v20
	v_fma_f32 v22, -v19, v21, v18
	v_fmac_f32_e32 v21, v22, v20
	v_fma_f32 v18, -v19, v21, v18
	v_div_fmas_f32 v18, v18, v20, v21
	v_div_fixup_f32 v15, v18, v16, v15
	v_mul_f32_e32 v16, v9, v9
	v_mov_b32_e32 v18, 0x3c0881c4
	v_fmamk_f32 v19, v16, 0xb94c1982, v18
	v_fmaak_f32 v19, v16, v19, 0xbe2aaa9d
	v_mul_f32_e32 v19, v16, v19
	v_fmac_f32_e32 v9, v9, v19
	v_mov_b32_e32 v19, 0xbab64f3b
	v_fmamk_f32 v21, v16, 0x37d75334, v19
	v_fmaak_f32 v21, v16, v21, 0x3d2aabf7
	v_fmaak_f32 v21, v16, v21, 0xbf000004
	v_fma_f32 v16, v16, v21, 1.0
	v_and_b32_e32 v21, 1, v4
	v_lshlrev_b32_e32 v4, 30, v4
	v_cmp_eq_u32_e32 vcc, 0, v21
	v_and_b32_e32 v4, 0x80000000, v4
	v_xor_b32_e32 v3, v3, v2
	v_cndmask_b32_e32 v9, v16, v9, vcc
	v_xor_b32_e32 v3, v3, v4
	v_div_scale_f32 v4, s[0:1], v14, v14, v17
	v_xor_b32_e32 v3, v3, v9
	v_rcp_f32_e32 v9, v4
	s_movk_i32 s3, 0x1f8
	v_mov_b32_e32 v16, 0x7fc00000
	v_cmp_class_f32_e64 s[0:1], v2, s3
	v_mov_b32_e32 v20, 0xbe2aaa9d
	v_mov_b32_e32 v22, 0x3d2aabf7
	v_cndmask_b32_e64 v2, v16, v3, s[0:1]
	v_fma_f32 v3, -v4, v9, 1.0
	v_fmac_f32_e32 v9, v3, v9
	v_div_scale_f32 v3, vcc, v17, v14, v17
	v_mul_f32_e32 v21, v3, v9
	v_fma_f32 v24, -v4, v21, v3
	v_fmac_f32_e32 v21, v24, v9
	v_fma_f32 v3, -v4, v21, v3
	v_mul_f32_e32 v4, v13, v13
	v_fmac_f32_e32 v18, 0xb94c1982, v4
	v_fmac_f32_e32 v20, v4, v18
	;; [unrolled: 1-line block ×3, first 2 shown]
	v_mov_b32_e32 v23, 0xbf000004
	v_div_fmas_f32 v3, v3, v9, v21
	v_mul_f32_e32 v9, v4, v20
	v_fmac_f32_e32 v22, v4, v19
	v_fmac_f32_e32 v13, v13, v9
	;; [unrolled: 1-line block ×3, first 2 shown]
	v_and_b32_e32 v9, 1, v12
	v_fma_f32 v4, v4, v23, 1.0
	v_cmp_eq_u32_e32 vcc, 0, v9
	s_brev_b32 s2, 1
	v_lshlrev_b32_e32 v9, 30, v12
	v_cndmask_b32_e64 v4, -v13, v4, vcc
	v_bitop3_b32 v4, v9, v4, s2 bitop3:0x6c
	v_cndmask_b32_e64 v4, v16, v4, s[0:1]
	s_mov_b32 s0, 0xf800000
	v_mul_f32_e32 v9, 0x4f800000, v5
	v_cmp_gt_f32_e32 vcc, s0, v5
	v_div_fixup_f32 v3, v3, v14, v17
	v_mul_f32_e32 v3, v11, v3
	v_cndmask_b32_e32 v5, v5, v9, vcc
	v_sqrt_f32_e32 v9, v5
	v_mul_f32_e32 v3, v3, v4
	v_fmac_f32_e32 v3, v15, v2
	v_mul_f32_e32 v2, 0x3f4c422a, v3
	v_add_u32_e32 v3, -1, v9
	v_fma_f32 v4, -v3, v9, v5
	v_cmp_ge_f32_e64 s[0:1], 0, v4
	v_add_u32_e32 v4, 1, v9
	s_nop 0
	v_cndmask_b32_e64 v3, v9, v3, s[0:1]
	v_fma_f32 v9, -v4, v9, v5
	v_cmp_lt_f32_e64 s[0:1], 0, v9
	s_nop 1
	v_cndmask_b32_e64 v3, v3, v4, s[0:1]
	v_mul_f32_e32 v4, 0x37800000, v3
	v_cndmask_b32_e32 v3, v3, v4, vcc
	v_mov_b32_e32 v4, 0x260
	v_cmp_class_f32_e32 vcc, v5, v4
	s_nop 1
	v_cndmask_b32_e32 v3, v3, v5, vcc
	v_div_scale_f32 v4, s[0:1], v3, v3, v2
	v_rcp_f32_e32 v5, v4
	s_nop 0
	v_fma_f32 v9, -v4, v5, 1.0
	v_fmac_f32_e32 v5, v9, v5
	v_div_scale_f32 v9, vcc, v2, v3, v2
	v_mul_f32_e32 v11, v9, v5
	v_fma_f32 v12, -v4, v11, v9
	v_fmac_f32_e32 v11, v12, v5
	v_fma_f32 v4, -v4, v11, v9
	v_div_fmas_f32 v4, v4, v5, v11
	v_div_fixup_f32 v9, v4, v3, v2
.LBB13_64:
	s_or_b64 exec, exec, s[8:9]
	v_lshl_add_u64 v[0:1], s[6:7], 2, v[0:1]
	v_mov_b32_e32 v11, 0
	v_lshl_add_u64 v[0:1], v[0:1], 0, v[10:11]
	flat_store_dwordx4 v[0:1], v[6:9]
	s_waitcnt vmcnt(0) lgkmcnt(0)
	s_setpc_b64 s[30:31]
.Lfunc_end13:
	.size	_ZN2at6native25elementwise_kernel_helperILb0EZZZNS0_12_GLOBAL__N_121bessel_y1_kernel_cudaERNS_18TensorIteratorBaseEENKUlvE_clEvENKUlvE0_clEvEUlfE_NS0_6memory8policies10vectorizedILi4ESt5arrayIPcLm2EELi4EEEEEvT0_T1_, .Lfunc_end13-_ZN2at6native25elementwise_kernel_helperILb0EZZZNS0_12_GLOBAL__N_121bessel_y1_kernel_cudaERNS_18TensorIteratorBaseEENKUlvE_clEvENKUlvE0_clEvEUlfE_NS0_6memory8policies10vectorizedILi4ESt5arrayIPcLm2EELi4EEEEEvT0_T1_
                                        ; -- End function
	.set .L_ZN2at6native25elementwise_kernel_helperILb0EZZZNS0_12_GLOBAL__N_121bessel_y1_kernel_cudaERNS_18TensorIteratorBaseEENKUlvE_clEvENKUlvE0_clEvEUlfE_NS0_6memory8policies10vectorizedILi4ESt5arrayIPcLm2EELi4EEEEEvT0_T1_.num_vgpr, 32
	.set .L_ZN2at6native25elementwise_kernel_helperILb0EZZZNS0_12_GLOBAL__N_121bessel_y1_kernel_cudaERNS_18TensorIteratorBaseEENKUlvE_clEvENKUlvE0_clEvEUlfE_NS0_6memory8policies10vectorizedILi4ESt5arrayIPcLm2EELi4EEEEEvT0_T1_.num_agpr, 0
	.set .L_ZN2at6native25elementwise_kernel_helperILb0EZZZNS0_12_GLOBAL__N_121bessel_y1_kernel_cudaERNS_18TensorIteratorBaseEENKUlvE_clEvENKUlvE0_clEvEUlfE_NS0_6memory8policies10vectorizedILi4ESt5arrayIPcLm2EELi4EEEEEvT0_T1_.numbered_sgpr, 32
	.set .L_ZN2at6native25elementwise_kernel_helperILb0EZZZNS0_12_GLOBAL__N_121bessel_y1_kernel_cudaERNS_18TensorIteratorBaseEENKUlvE_clEvENKUlvE0_clEvEUlfE_NS0_6memory8policies10vectorizedILi4ESt5arrayIPcLm2EELi4EEEEEvT0_T1_.num_named_barrier, 0
	.set .L_ZN2at6native25elementwise_kernel_helperILb0EZZZNS0_12_GLOBAL__N_121bessel_y1_kernel_cudaERNS_18TensorIteratorBaseEENKUlvE_clEvENKUlvE0_clEvEUlfE_NS0_6memory8policies10vectorizedILi4ESt5arrayIPcLm2EELi4EEEEEvT0_T1_.private_seg_size, 0
	.set .L_ZN2at6native25elementwise_kernel_helperILb0EZZZNS0_12_GLOBAL__N_121bessel_y1_kernel_cudaERNS_18TensorIteratorBaseEENKUlvE_clEvENKUlvE0_clEvEUlfE_NS0_6memory8policies10vectorizedILi4ESt5arrayIPcLm2EELi4EEEEEvT0_T1_.uses_vcc, 1
	.set .L_ZN2at6native25elementwise_kernel_helperILb0EZZZNS0_12_GLOBAL__N_121bessel_y1_kernel_cudaERNS_18TensorIteratorBaseEENKUlvE_clEvENKUlvE0_clEvEUlfE_NS0_6memory8policies10vectorizedILi4ESt5arrayIPcLm2EELi4EEEEEvT0_T1_.uses_flat_scratch, 0
	.set .L_ZN2at6native25elementwise_kernel_helperILb0EZZZNS0_12_GLOBAL__N_121bessel_y1_kernel_cudaERNS_18TensorIteratorBaseEENKUlvE_clEvENKUlvE0_clEvEUlfE_NS0_6memory8policies10vectorizedILi4ESt5arrayIPcLm2EELi4EEEEEvT0_T1_.has_dyn_sized_stack, 0
	.set .L_ZN2at6native25elementwise_kernel_helperILb0EZZZNS0_12_GLOBAL__N_121bessel_y1_kernel_cudaERNS_18TensorIteratorBaseEENKUlvE_clEvENKUlvE0_clEvEUlfE_NS0_6memory8policies10vectorizedILi4ESt5arrayIPcLm2EELi4EEEEEvT0_T1_.has_recursion, 0
	.set .L_ZN2at6native25elementwise_kernel_helperILb0EZZZNS0_12_GLOBAL__N_121bessel_y1_kernel_cudaERNS_18TensorIteratorBaseEENKUlvE_clEvENKUlvE0_clEvEUlfE_NS0_6memory8policies10vectorizedILi4ESt5arrayIPcLm2EELi4EEEEEvT0_T1_.has_indirect_call, 0
	.section	.AMDGPU.csdata,"",@progbits
; Function info:
; codeLenInByte = 12688
; TotalNumSgprs: 38
; NumVgprs: 32
; NumAgprs: 0
; TotalNumVgprs: 32
; ScratchSize: 0
; MemoryBound: 0
	.section	.text._ZN2at6native29vectorized_elementwise_kernelILi16EZZZNS0_12_GLOBAL__N_121bessel_y1_kernel_cudaERNS_18TensorIteratorBaseEENKUlvE_clEvENKUlvE0_clEvEUlfE_St5arrayIPcLm2EEEEviT0_T1_,"axG",@progbits,_ZN2at6native29vectorized_elementwise_kernelILi16EZZZNS0_12_GLOBAL__N_121bessel_y1_kernel_cudaERNS_18TensorIteratorBaseEENKUlvE_clEvENKUlvE0_clEvEUlfE_St5arrayIPcLm2EEEEviT0_T1_,comdat
	.globl	_ZN2at6native29vectorized_elementwise_kernelILi16EZZZNS0_12_GLOBAL__N_121bessel_y1_kernel_cudaERNS_18TensorIteratorBaseEENKUlvE_clEvENKUlvE0_clEvEUlfE_St5arrayIPcLm2EEEEviT0_T1_ ; -- Begin function _ZN2at6native29vectorized_elementwise_kernelILi16EZZZNS0_12_GLOBAL__N_121bessel_y1_kernel_cudaERNS_18TensorIteratorBaseEENKUlvE_clEvENKUlvE0_clEvEUlfE_St5arrayIPcLm2EEEEviT0_T1_
	.p2align	8
	.type	_ZN2at6native29vectorized_elementwise_kernelILi16EZZZNS0_12_GLOBAL__N_121bessel_y1_kernel_cudaERNS_18TensorIteratorBaseEENKUlvE_clEvENKUlvE0_clEvEUlfE_St5arrayIPcLm2EEEEviT0_T1_,@function
_ZN2at6native29vectorized_elementwise_kernelILi16EZZZNS0_12_GLOBAL__N_121bessel_y1_kernel_cudaERNS_18TensorIteratorBaseEENKUlvE_clEvENKUlvE0_clEvEUlfE_St5arrayIPcLm2EEEEviT0_T1_: ; @_ZN2at6native29vectorized_elementwise_kernelILi16EZZZNS0_12_GLOBAL__N_121bessel_y1_kernel_cudaERNS_18TensorIteratorBaseEENKUlvE_clEvENKUlvE0_clEvEUlfE_St5arrayIPcLm2EEEEviT0_T1_
; %bb.0:
	s_mov_b32 s14, s2
	s_load_dword s2, s[0:1], 0x0
	s_load_dwordx4 s[16:19], s[0:1], 0x8
	s_lshl_b32 s0, s14, 10
	v_mov_b32_e32 v31, v0
	s_mov_b32 s32, 0
	s_waitcnt lgkmcnt(0)
	s_sub_i32 s15, s2, s0
	s_cmpk_gt_i32 s15, 0x3ff
	s_mov_b64 s[0:1], -1
	s_cbranch_scc1 .LBB14_3
; %bb.1:
	s_andn2_b64 vcc, exec, s[0:1]
	s_cbranch_vccz .LBB14_4
.LBB14_2:
	s_endpgm
.LBB14_3:
	s_getpc_b64 s[0:1]
	s_add_u32 s0, s0, _ZN2at6native25elementwise_kernel_helperILb0EZZZNS0_12_GLOBAL__N_121bessel_y1_kernel_cudaERNS_18TensorIteratorBaseEENKUlvE_clEvENKUlvE0_clEvEUlfE_NS0_6memory8policies10vectorizedILi4ESt5arrayIPcLm2EELi4EEEEEvT0_T1_@rel32@lo+4
	s_addc_u32 s1, s1, _ZN2at6native25elementwise_kernel_helperILb0EZZZNS0_12_GLOBAL__N_121bessel_y1_kernel_cudaERNS_18TensorIteratorBaseEENKUlvE_clEvENKUlvE0_clEvEUlfE_NS0_6memory8policies10vectorizedILi4ESt5arrayIPcLm2EELi4EEEEEvT0_T1_@rel32@hi+12
	s_mov_b32 s12, s14
	v_mov_b32_e32 v0, s16
	v_mov_b32_e32 v1, s17
	;; [unrolled: 1-line block ×4, first 2 shown]
	s_swappc_b64 s[30:31], s[0:1]
	s_cbranch_execnz .LBB14_2
.LBB14_4:
	s_getpc_b64 s[0:1]
	s_add_u32 s0, s0, _ZN2at6native25elementwise_kernel_helperILb0EZZZNS0_12_GLOBAL__N_121bessel_y1_kernel_cudaERNS_18TensorIteratorBaseEENKUlvE_clEvENKUlvE0_clEvEUlfE_NS0_6memory8policies11unroll_baseILi256ESt5arrayIPcLm2EE23TrivialOffsetCalculatorILi1EjESF_NS8_15LoadWithoutCastENS8_16StoreWithoutCastELi4ELi1EEEEEvT0_T1_@rel32@lo+4
	s_addc_u32 s1, s1, _ZN2at6native25elementwise_kernel_helperILb0EZZZNS0_12_GLOBAL__N_121bessel_y1_kernel_cudaERNS_18TensorIteratorBaseEENKUlvE_clEvENKUlvE0_clEvEUlfE_NS0_6memory8policies11unroll_baseILi256ESt5arrayIPcLm2EE23TrivialOffsetCalculatorILi1EjESF_NS8_15LoadWithoutCastENS8_16StoreWithoutCastELi4ELi1EEEEEvT0_T1_@rel32@hi+12
	s_mov_b32 s12, s14
	v_mov_b32_e32 v0, s16
	v_mov_b32_e32 v1, s17
	;; [unrolled: 1-line block ×5, first 2 shown]
	s_swappc_b64 s[30:31], s[0:1]
	s_endpgm
	.section	.rodata,"a",@progbits
	.p2align	6, 0x0
	.amdhsa_kernel _ZN2at6native29vectorized_elementwise_kernelILi16EZZZNS0_12_GLOBAL__N_121bessel_y1_kernel_cudaERNS_18TensorIteratorBaseEENKUlvE_clEvENKUlvE0_clEvEUlfE_St5arrayIPcLm2EEEEviT0_T1_
		.amdhsa_group_segment_fixed_size 0
		.amdhsa_private_segment_fixed_size 0
		.amdhsa_kernarg_size 24
		.amdhsa_user_sgpr_count 2
		.amdhsa_user_sgpr_dispatch_ptr 0
		.amdhsa_user_sgpr_queue_ptr 0
		.amdhsa_user_sgpr_kernarg_segment_ptr 1
		.amdhsa_user_sgpr_dispatch_id 0
		.amdhsa_user_sgpr_kernarg_preload_length 0
		.amdhsa_user_sgpr_kernarg_preload_offset 0
		.amdhsa_user_sgpr_private_segment_size 0
		.amdhsa_uses_dynamic_stack 0
		.amdhsa_enable_private_segment 0
		.amdhsa_system_sgpr_workgroup_id_x 1
		.amdhsa_system_sgpr_workgroup_id_y 0
		.amdhsa_system_sgpr_workgroup_id_z 0
		.amdhsa_system_sgpr_workgroup_info 0
		.amdhsa_system_vgpr_workitem_id 0
		.amdhsa_next_free_vgpr 32
		.amdhsa_next_free_sgpr 33
		.amdhsa_accum_offset 32
		.amdhsa_reserve_vcc 1
		.amdhsa_float_round_mode_32 0
		.amdhsa_float_round_mode_16_64 0
		.amdhsa_float_denorm_mode_32 3
		.amdhsa_float_denorm_mode_16_64 3
		.amdhsa_dx10_clamp 1
		.amdhsa_ieee_mode 1
		.amdhsa_fp16_overflow 0
		.amdhsa_tg_split 0
		.amdhsa_exception_fp_ieee_invalid_op 0
		.amdhsa_exception_fp_denorm_src 0
		.amdhsa_exception_fp_ieee_div_zero 0
		.amdhsa_exception_fp_ieee_overflow 0
		.amdhsa_exception_fp_ieee_underflow 0
		.amdhsa_exception_fp_ieee_inexact 0
		.amdhsa_exception_int_div_zero 0
	.end_amdhsa_kernel
	.section	.text._ZN2at6native29vectorized_elementwise_kernelILi16EZZZNS0_12_GLOBAL__N_121bessel_y1_kernel_cudaERNS_18TensorIteratorBaseEENKUlvE_clEvENKUlvE0_clEvEUlfE_St5arrayIPcLm2EEEEviT0_T1_,"axG",@progbits,_ZN2at6native29vectorized_elementwise_kernelILi16EZZZNS0_12_GLOBAL__N_121bessel_y1_kernel_cudaERNS_18TensorIteratorBaseEENKUlvE_clEvENKUlvE0_clEvEUlfE_St5arrayIPcLm2EEEEviT0_T1_,comdat
.Lfunc_end14:
	.size	_ZN2at6native29vectorized_elementwise_kernelILi16EZZZNS0_12_GLOBAL__N_121bessel_y1_kernel_cudaERNS_18TensorIteratorBaseEENKUlvE_clEvENKUlvE0_clEvEUlfE_St5arrayIPcLm2EEEEviT0_T1_, .Lfunc_end14-_ZN2at6native29vectorized_elementwise_kernelILi16EZZZNS0_12_GLOBAL__N_121bessel_y1_kernel_cudaERNS_18TensorIteratorBaseEENKUlvE_clEvENKUlvE0_clEvEUlfE_St5arrayIPcLm2EEEEviT0_T1_
                                        ; -- End function
	.set _ZN2at6native29vectorized_elementwise_kernelILi16EZZZNS0_12_GLOBAL__N_121bessel_y1_kernel_cudaERNS_18TensorIteratorBaseEENKUlvE_clEvENKUlvE0_clEvEUlfE_St5arrayIPcLm2EEEEviT0_T1_.num_vgpr, max(32, .L_ZN2at6native25elementwise_kernel_helperILb0EZZZNS0_12_GLOBAL__N_121bessel_y1_kernel_cudaERNS_18TensorIteratorBaseEENKUlvE_clEvENKUlvE0_clEvEUlfE_NS0_6memory8policies10vectorizedILi4ESt5arrayIPcLm2EELi4EEEEEvT0_T1_.num_vgpr, .L_ZN2at6native25elementwise_kernel_helperILb0EZZZNS0_12_GLOBAL__N_121bessel_y1_kernel_cudaERNS_18TensorIteratorBaseEENKUlvE_clEvENKUlvE0_clEvEUlfE_NS0_6memory8policies11unroll_baseILi256ESt5arrayIPcLm2EE23TrivialOffsetCalculatorILi1EjESF_NS8_15LoadWithoutCastENS8_16StoreWithoutCastELi4ELi1EEEEEvT0_T1_.num_vgpr)
	.set _ZN2at6native29vectorized_elementwise_kernelILi16EZZZNS0_12_GLOBAL__N_121bessel_y1_kernel_cudaERNS_18TensorIteratorBaseEENKUlvE_clEvENKUlvE0_clEvEUlfE_St5arrayIPcLm2EEEEviT0_T1_.num_agpr, max(0, .L_ZN2at6native25elementwise_kernel_helperILb0EZZZNS0_12_GLOBAL__N_121bessel_y1_kernel_cudaERNS_18TensorIteratorBaseEENKUlvE_clEvENKUlvE0_clEvEUlfE_NS0_6memory8policies10vectorizedILi4ESt5arrayIPcLm2EELi4EEEEEvT0_T1_.num_agpr, .L_ZN2at6native25elementwise_kernel_helperILb0EZZZNS0_12_GLOBAL__N_121bessel_y1_kernel_cudaERNS_18TensorIteratorBaseEENKUlvE_clEvENKUlvE0_clEvEUlfE_NS0_6memory8policies11unroll_baseILi256ESt5arrayIPcLm2EE23TrivialOffsetCalculatorILi1EjESF_NS8_15LoadWithoutCastENS8_16StoreWithoutCastELi4ELi1EEEEEvT0_T1_.num_agpr)
	.set _ZN2at6native29vectorized_elementwise_kernelILi16EZZZNS0_12_GLOBAL__N_121bessel_y1_kernel_cudaERNS_18TensorIteratorBaseEENKUlvE_clEvENKUlvE0_clEvEUlfE_St5arrayIPcLm2EEEEviT0_T1_.numbered_sgpr, max(33, .L_ZN2at6native25elementwise_kernel_helperILb0EZZZNS0_12_GLOBAL__N_121bessel_y1_kernel_cudaERNS_18TensorIteratorBaseEENKUlvE_clEvENKUlvE0_clEvEUlfE_NS0_6memory8policies10vectorizedILi4ESt5arrayIPcLm2EELi4EEEEEvT0_T1_.numbered_sgpr, .L_ZN2at6native25elementwise_kernel_helperILb0EZZZNS0_12_GLOBAL__N_121bessel_y1_kernel_cudaERNS_18TensorIteratorBaseEENKUlvE_clEvENKUlvE0_clEvEUlfE_NS0_6memory8policies11unroll_baseILi256ESt5arrayIPcLm2EE23TrivialOffsetCalculatorILi1EjESF_NS8_15LoadWithoutCastENS8_16StoreWithoutCastELi4ELi1EEEEEvT0_T1_.numbered_sgpr)
	.set _ZN2at6native29vectorized_elementwise_kernelILi16EZZZNS0_12_GLOBAL__N_121bessel_y1_kernel_cudaERNS_18TensorIteratorBaseEENKUlvE_clEvENKUlvE0_clEvEUlfE_St5arrayIPcLm2EEEEviT0_T1_.num_named_barrier, max(0, .L_ZN2at6native25elementwise_kernel_helperILb0EZZZNS0_12_GLOBAL__N_121bessel_y1_kernel_cudaERNS_18TensorIteratorBaseEENKUlvE_clEvENKUlvE0_clEvEUlfE_NS0_6memory8policies10vectorizedILi4ESt5arrayIPcLm2EELi4EEEEEvT0_T1_.num_named_barrier, .L_ZN2at6native25elementwise_kernel_helperILb0EZZZNS0_12_GLOBAL__N_121bessel_y1_kernel_cudaERNS_18TensorIteratorBaseEENKUlvE_clEvENKUlvE0_clEvEUlfE_NS0_6memory8policies11unroll_baseILi256ESt5arrayIPcLm2EE23TrivialOffsetCalculatorILi1EjESF_NS8_15LoadWithoutCastENS8_16StoreWithoutCastELi4ELi1EEEEEvT0_T1_.num_named_barrier)
	.set _ZN2at6native29vectorized_elementwise_kernelILi16EZZZNS0_12_GLOBAL__N_121bessel_y1_kernel_cudaERNS_18TensorIteratorBaseEENKUlvE_clEvENKUlvE0_clEvEUlfE_St5arrayIPcLm2EEEEviT0_T1_.private_seg_size, 0+max(.L_ZN2at6native25elementwise_kernel_helperILb0EZZZNS0_12_GLOBAL__N_121bessel_y1_kernel_cudaERNS_18TensorIteratorBaseEENKUlvE_clEvENKUlvE0_clEvEUlfE_NS0_6memory8policies10vectorizedILi4ESt5arrayIPcLm2EELi4EEEEEvT0_T1_.private_seg_size, .L_ZN2at6native25elementwise_kernel_helperILb0EZZZNS0_12_GLOBAL__N_121bessel_y1_kernel_cudaERNS_18TensorIteratorBaseEENKUlvE_clEvENKUlvE0_clEvEUlfE_NS0_6memory8policies11unroll_baseILi256ESt5arrayIPcLm2EE23TrivialOffsetCalculatorILi1EjESF_NS8_15LoadWithoutCastENS8_16StoreWithoutCastELi4ELi1EEEEEvT0_T1_.private_seg_size)
	.set _ZN2at6native29vectorized_elementwise_kernelILi16EZZZNS0_12_GLOBAL__N_121bessel_y1_kernel_cudaERNS_18TensorIteratorBaseEENKUlvE_clEvENKUlvE0_clEvEUlfE_St5arrayIPcLm2EEEEviT0_T1_.uses_vcc, or(1, .L_ZN2at6native25elementwise_kernel_helperILb0EZZZNS0_12_GLOBAL__N_121bessel_y1_kernel_cudaERNS_18TensorIteratorBaseEENKUlvE_clEvENKUlvE0_clEvEUlfE_NS0_6memory8policies10vectorizedILi4ESt5arrayIPcLm2EELi4EEEEEvT0_T1_.uses_vcc, .L_ZN2at6native25elementwise_kernel_helperILb0EZZZNS0_12_GLOBAL__N_121bessel_y1_kernel_cudaERNS_18TensorIteratorBaseEENKUlvE_clEvENKUlvE0_clEvEUlfE_NS0_6memory8policies11unroll_baseILi256ESt5arrayIPcLm2EE23TrivialOffsetCalculatorILi1EjESF_NS8_15LoadWithoutCastENS8_16StoreWithoutCastELi4ELi1EEEEEvT0_T1_.uses_vcc)
	.set _ZN2at6native29vectorized_elementwise_kernelILi16EZZZNS0_12_GLOBAL__N_121bessel_y1_kernel_cudaERNS_18TensorIteratorBaseEENKUlvE_clEvENKUlvE0_clEvEUlfE_St5arrayIPcLm2EEEEviT0_T1_.uses_flat_scratch, or(0, .L_ZN2at6native25elementwise_kernel_helperILb0EZZZNS0_12_GLOBAL__N_121bessel_y1_kernel_cudaERNS_18TensorIteratorBaseEENKUlvE_clEvENKUlvE0_clEvEUlfE_NS0_6memory8policies10vectorizedILi4ESt5arrayIPcLm2EELi4EEEEEvT0_T1_.uses_flat_scratch, .L_ZN2at6native25elementwise_kernel_helperILb0EZZZNS0_12_GLOBAL__N_121bessel_y1_kernel_cudaERNS_18TensorIteratorBaseEENKUlvE_clEvENKUlvE0_clEvEUlfE_NS0_6memory8policies11unroll_baseILi256ESt5arrayIPcLm2EE23TrivialOffsetCalculatorILi1EjESF_NS8_15LoadWithoutCastENS8_16StoreWithoutCastELi4ELi1EEEEEvT0_T1_.uses_flat_scratch)
	.set _ZN2at6native29vectorized_elementwise_kernelILi16EZZZNS0_12_GLOBAL__N_121bessel_y1_kernel_cudaERNS_18TensorIteratorBaseEENKUlvE_clEvENKUlvE0_clEvEUlfE_St5arrayIPcLm2EEEEviT0_T1_.has_dyn_sized_stack, or(0, .L_ZN2at6native25elementwise_kernel_helperILb0EZZZNS0_12_GLOBAL__N_121bessel_y1_kernel_cudaERNS_18TensorIteratorBaseEENKUlvE_clEvENKUlvE0_clEvEUlfE_NS0_6memory8policies10vectorizedILi4ESt5arrayIPcLm2EELi4EEEEEvT0_T1_.has_dyn_sized_stack, .L_ZN2at6native25elementwise_kernel_helperILb0EZZZNS0_12_GLOBAL__N_121bessel_y1_kernel_cudaERNS_18TensorIteratorBaseEENKUlvE_clEvENKUlvE0_clEvEUlfE_NS0_6memory8policies11unroll_baseILi256ESt5arrayIPcLm2EE23TrivialOffsetCalculatorILi1EjESF_NS8_15LoadWithoutCastENS8_16StoreWithoutCastELi4ELi1EEEEEvT0_T1_.has_dyn_sized_stack)
	.set _ZN2at6native29vectorized_elementwise_kernelILi16EZZZNS0_12_GLOBAL__N_121bessel_y1_kernel_cudaERNS_18TensorIteratorBaseEENKUlvE_clEvENKUlvE0_clEvEUlfE_St5arrayIPcLm2EEEEviT0_T1_.has_recursion, or(0, .L_ZN2at6native25elementwise_kernel_helperILb0EZZZNS0_12_GLOBAL__N_121bessel_y1_kernel_cudaERNS_18TensorIteratorBaseEENKUlvE_clEvENKUlvE0_clEvEUlfE_NS0_6memory8policies10vectorizedILi4ESt5arrayIPcLm2EELi4EEEEEvT0_T1_.has_recursion, .L_ZN2at6native25elementwise_kernel_helperILb0EZZZNS0_12_GLOBAL__N_121bessel_y1_kernel_cudaERNS_18TensorIteratorBaseEENKUlvE_clEvENKUlvE0_clEvEUlfE_NS0_6memory8policies11unroll_baseILi256ESt5arrayIPcLm2EE23TrivialOffsetCalculatorILi1EjESF_NS8_15LoadWithoutCastENS8_16StoreWithoutCastELi4ELi1EEEEEvT0_T1_.has_recursion)
	.set _ZN2at6native29vectorized_elementwise_kernelILi16EZZZNS0_12_GLOBAL__N_121bessel_y1_kernel_cudaERNS_18TensorIteratorBaseEENKUlvE_clEvENKUlvE0_clEvEUlfE_St5arrayIPcLm2EEEEviT0_T1_.has_indirect_call, or(0, .L_ZN2at6native25elementwise_kernel_helperILb0EZZZNS0_12_GLOBAL__N_121bessel_y1_kernel_cudaERNS_18TensorIteratorBaseEENKUlvE_clEvENKUlvE0_clEvEUlfE_NS0_6memory8policies10vectorizedILi4ESt5arrayIPcLm2EELi4EEEEEvT0_T1_.has_indirect_call, .L_ZN2at6native25elementwise_kernel_helperILb0EZZZNS0_12_GLOBAL__N_121bessel_y1_kernel_cudaERNS_18TensorIteratorBaseEENKUlvE_clEvENKUlvE0_clEvEUlfE_NS0_6memory8policies11unroll_baseILi256ESt5arrayIPcLm2EE23TrivialOffsetCalculatorILi1EjESF_NS8_15LoadWithoutCastENS8_16StoreWithoutCastELi4ELi1EEEEEvT0_T1_.has_indirect_call)
	.section	.AMDGPU.csdata,"",@progbits
; Kernel info:
; codeLenInByte = 164
; TotalNumSgprs: 39
; NumVgprs: 32
; NumAgprs: 0
; TotalNumVgprs: 32
; ScratchSize: 0
; MemoryBound: 0
; FloatMode: 240
; IeeeMode: 1
; LDSByteSize: 0 bytes/workgroup (compile time only)
; SGPRBlocks: 4
; VGPRBlocks: 3
; NumSGPRsForWavesPerEU: 39
; NumVGPRsForWavesPerEU: 32
; AccumOffset: 32
; Occupancy: 8
; WaveLimiterHint : 0
; COMPUTE_PGM_RSRC2:SCRATCH_EN: 0
; COMPUTE_PGM_RSRC2:USER_SGPR: 2
; COMPUTE_PGM_RSRC2:TRAP_HANDLER: 0
; COMPUTE_PGM_RSRC2:TGID_X_EN: 1
; COMPUTE_PGM_RSRC2:TGID_Y_EN: 0
; COMPUTE_PGM_RSRC2:TGID_Z_EN: 0
; COMPUTE_PGM_RSRC2:TIDIG_COMP_CNT: 0
; COMPUTE_PGM_RSRC3_GFX90A:ACCUM_OFFSET: 7
; COMPUTE_PGM_RSRC3_GFX90A:TG_SPLIT: 0
	.section	.text._ZN2at6native29vectorized_elementwise_kernelILi8EZZZNS0_12_GLOBAL__N_121bessel_y1_kernel_cudaERNS_18TensorIteratorBaseEENKUlvE_clEvENKUlvE0_clEvEUlfE_St5arrayIPcLm2EEEEviT0_T1_,"axG",@progbits,_ZN2at6native29vectorized_elementwise_kernelILi8EZZZNS0_12_GLOBAL__N_121bessel_y1_kernel_cudaERNS_18TensorIteratorBaseEENKUlvE_clEvENKUlvE0_clEvEUlfE_St5arrayIPcLm2EEEEviT0_T1_,comdat
	.globl	_ZN2at6native29vectorized_elementwise_kernelILi8EZZZNS0_12_GLOBAL__N_121bessel_y1_kernel_cudaERNS_18TensorIteratorBaseEENKUlvE_clEvENKUlvE0_clEvEUlfE_St5arrayIPcLm2EEEEviT0_T1_ ; -- Begin function _ZN2at6native29vectorized_elementwise_kernelILi8EZZZNS0_12_GLOBAL__N_121bessel_y1_kernel_cudaERNS_18TensorIteratorBaseEENKUlvE_clEvENKUlvE0_clEvEUlfE_St5arrayIPcLm2EEEEviT0_T1_
	.p2align	8
	.type	_ZN2at6native29vectorized_elementwise_kernelILi8EZZZNS0_12_GLOBAL__N_121bessel_y1_kernel_cudaERNS_18TensorIteratorBaseEENKUlvE_clEvENKUlvE0_clEvEUlfE_St5arrayIPcLm2EEEEviT0_T1_,@function
_ZN2at6native29vectorized_elementwise_kernelILi8EZZZNS0_12_GLOBAL__N_121bessel_y1_kernel_cudaERNS_18TensorIteratorBaseEENKUlvE_clEvENKUlvE0_clEvEUlfE_St5arrayIPcLm2EEEEviT0_T1_: ; @_ZN2at6native29vectorized_elementwise_kernelILi8EZZZNS0_12_GLOBAL__N_121bessel_y1_kernel_cudaERNS_18TensorIteratorBaseEENKUlvE_clEvENKUlvE0_clEvEUlfE_St5arrayIPcLm2EEEEviT0_T1_
; %bb.0:
	s_mov_b32 s14, s2
	s_load_dword s2, s[0:1], 0x0
	s_load_dwordx4 s[16:19], s[0:1], 0x8
	s_lshl_b32 s0, s14, 10
	v_mov_b32_e32 v31, v0
	s_mov_b32 s32, 0
	s_waitcnt lgkmcnt(0)
	s_sub_i32 s15, s2, s0
	s_cmpk_gt_i32 s15, 0x3ff
	s_mov_b64 s[0:1], -1
	s_cbranch_scc1 .LBB15_3
; %bb.1:
	s_andn2_b64 vcc, exec, s[0:1]
	s_cbranch_vccz .LBB15_4
.LBB15_2:
	s_endpgm
.LBB15_3:
	s_getpc_b64 s[0:1]
	s_add_u32 s0, s0, _ZN2at6native25elementwise_kernel_helperILb0EZZZNS0_12_GLOBAL__N_121bessel_y1_kernel_cudaERNS_18TensorIteratorBaseEENKUlvE_clEvENKUlvE0_clEvEUlfE_NS0_6memory8policies10vectorizedILi4ESt5arrayIPcLm2EELi4EEEEEvT0_T1_@rel32@lo+4
	s_addc_u32 s1, s1, _ZN2at6native25elementwise_kernel_helperILb0EZZZNS0_12_GLOBAL__N_121bessel_y1_kernel_cudaERNS_18TensorIteratorBaseEENKUlvE_clEvENKUlvE0_clEvEUlfE_NS0_6memory8policies10vectorizedILi4ESt5arrayIPcLm2EELi4EEEEEvT0_T1_@rel32@hi+12
	s_mov_b32 s12, s14
	v_mov_b32_e32 v0, s16
	v_mov_b32_e32 v1, s17
	;; [unrolled: 1-line block ×4, first 2 shown]
	s_swappc_b64 s[30:31], s[0:1]
	s_cbranch_execnz .LBB15_2
.LBB15_4:
	s_getpc_b64 s[0:1]
	s_add_u32 s0, s0, _ZN2at6native25elementwise_kernel_helperILb0EZZZNS0_12_GLOBAL__N_121bessel_y1_kernel_cudaERNS_18TensorIteratorBaseEENKUlvE_clEvENKUlvE0_clEvEUlfE_NS0_6memory8policies11unroll_baseILi256ESt5arrayIPcLm2EE23TrivialOffsetCalculatorILi1EjESF_NS8_15LoadWithoutCastENS8_16StoreWithoutCastELi4ELi1EEEEEvT0_T1_@rel32@lo+4
	s_addc_u32 s1, s1, _ZN2at6native25elementwise_kernel_helperILb0EZZZNS0_12_GLOBAL__N_121bessel_y1_kernel_cudaERNS_18TensorIteratorBaseEENKUlvE_clEvENKUlvE0_clEvEUlfE_NS0_6memory8policies11unroll_baseILi256ESt5arrayIPcLm2EE23TrivialOffsetCalculatorILi1EjESF_NS8_15LoadWithoutCastENS8_16StoreWithoutCastELi4ELi1EEEEEvT0_T1_@rel32@hi+12
	s_mov_b32 s12, s14
	v_mov_b32_e32 v0, s16
	v_mov_b32_e32 v1, s17
	v_mov_b32_e32 v2, s18
	v_mov_b32_e32 v3, s19
	v_mov_b32_e32 v4, s15
	s_swappc_b64 s[30:31], s[0:1]
	s_endpgm
	.section	.rodata,"a",@progbits
	.p2align	6, 0x0
	.amdhsa_kernel _ZN2at6native29vectorized_elementwise_kernelILi8EZZZNS0_12_GLOBAL__N_121bessel_y1_kernel_cudaERNS_18TensorIteratorBaseEENKUlvE_clEvENKUlvE0_clEvEUlfE_St5arrayIPcLm2EEEEviT0_T1_
		.amdhsa_group_segment_fixed_size 0
		.amdhsa_private_segment_fixed_size 0
		.amdhsa_kernarg_size 24
		.amdhsa_user_sgpr_count 2
		.amdhsa_user_sgpr_dispatch_ptr 0
		.amdhsa_user_sgpr_queue_ptr 0
		.amdhsa_user_sgpr_kernarg_segment_ptr 1
		.amdhsa_user_sgpr_dispatch_id 0
		.amdhsa_user_sgpr_kernarg_preload_length 0
		.amdhsa_user_sgpr_kernarg_preload_offset 0
		.amdhsa_user_sgpr_private_segment_size 0
		.amdhsa_uses_dynamic_stack 0
		.amdhsa_enable_private_segment 0
		.amdhsa_system_sgpr_workgroup_id_x 1
		.amdhsa_system_sgpr_workgroup_id_y 0
		.amdhsa_system_sgpr_workgroup_id_z 0
		.amdhsa_system_sgpr_workgroup_info 0
		.amdhsa_system_vgpr_workitem_id 0
		.amdhsa_next_free_vgpr 32
		.amdhsa_next_free_sgpr 33
		.amdhsa_accum_offset 32
		.amdhsa_reserve_vcc 1
		.amdhsa_float_round_mode_32 0
		.amdhsa_float_round_mode_16_64 0
		.amdhsa_float_denorm_mode_32 3
		.amdhsa_float_denorm_mode_16_64 3
		.amdhsa_dx10_clamp 1
		.amdhsa_ieee_mode 1
		.amdhsa_fp16_overflow 0
		.amdhsa_tg_split 0
		.amdhsa_exception_fp_ieee_invalid_op 0
		.amdhsa_exception_fp_denorm_src 0
		.amdhsa_exception_fp_ieee_div_zero 0
		.amdhsa_exception_fp_ieee_overflow 0
		.amdhsa_exception_fp_ieee_underflow 0
		.amdhsa_exception_fp_ieee_inexact 0
		.amdhsa_exception_int_div_zero 0
	.end_amdhsa_kernel
	.section	.text._ZN2at6native29vectorized_elementwise_kernelILi8EZZZNS0_12_GLOBAL__N_121bessel_y1_kernel_cudaERNS_18TensorIteratorBaseEENKUlvE_clEvENKUlvE0_clEvEUlfE_St5arrayIPcLm2EEEEviT0_T1_,"axG",@progbits,_ZN2at6native29vectorized_elementwise_kernelILi8EZZZNS0_12_GLOBAL__N_121bessel_y1_kernel_cudaERNS_18TensorIteratorBaseEENKUlvE_clEvENKUlvE0_clEvEUlfE_St5arrayIPcLm2EEEEviT0_T1_,comdat
.Lfunc_end15:
	.size	_ZN2at6native29vectorized_elementwise_kernelILi8EZZZNS0_12_GLOBAL__N_121bessel_y1_kernel_cudaERNS_18TensorIteratorBaseEENKUlvE_clEvENKUlvE0_clEvEUlfE_St5arrayIPcLm2EEEEviT0_T1_, .Lfunc_end15-_ZN2at6native29vectorized_elementwise_kernelILi8EZZZNS0_12_GLOBAL__N_121bessel_y1_kernel_cudaERNS_18TensorIteratorBaseEENKUlvE_clEvENKUlvE0_clEvEUlfE_St5arrayIPcLm2EEEEviT0_T1_
                                        ; -- End function
	.set _ZN2at6native29vectorized_elementwise_kernelILi8EZZZNS0_12_GLOBAL__N_121bessel_y1_kernel_cudaERNS_18TensorIteratorBaseEENKUlvE_clEvENKUlvE0_clEvEUlfE_St5arrayIPcLm2EEEEviT0_T1_.num_vgpr, max(32, .L_ZN2at6native25elementwise_kernel_helperILb0EZZZNS0_12_GLOBAL__N_121bessel_y1_kernel_cudaERNS_18TensorIteratorBaseEENKUlvE_clEvENKUlvE0_clEvEUlfE_NS0_6memory8policies10vectorizedILi4ESt5arrayIPcLm2EELi4EEEEEvT0_T1_.num_vgpr, .L_ZN2at6native25elementwise_kernel_helperILb0EZZZNS0_12_GLOBAL__N_121bessel_y1_kernel_cudaERNS_18TensorIteratorBaseEENKUlvE_clEvENKUlvE0_clEvEUlfE_NS0_6memory8policies11unroll_baseILi256ESt5arrayIPcLm2EE23TrivialOffsetCalculatorILi1EjESF_NS8_15LoadWithoutCastENS8_16StoreWithoutCastELi4ELi1EEEEEvT0_T1_.num_vgpr)
	.set _ZN2at6native29vectorized_elementwise_kernelILi8EZZZNS0_12_GLOBAL__N_121bessel_y1_kernel_cudaERNS_18TensorIteratorBaseEENKUlvE_clEvENKUlvE0_clEvEUlfE_St5arrayIPcLm2EEEEviT0_T1_.num_agpr, max(0, .L_ZN2at6native25elementwise_kernel_helperILb0EZZZNS0_12_GLOBAL__N_121bessel_y1_kernel_cudaERNS_18TensorIteratorBaseEENKUlvE_clEvENKUlvE0_clEvEUlfE_NS0_6memory8policies10vectorizedILi4ESt5arrayIPcLm2EELi4EEEEEvT0_T1_.num_agpr, .L_ZN2at6native25elementwise_kernel_helperILb0EZZZNS0_12_GLOBAL__N_121bessel_y1_kernel_cudaERNS_18TensorIteratorBaseEENKUlvE_clEvENKUlvE0_clEvEUlfE_NS0_6memory8policies11unroll_baseILi256ESt5arrayIPcLm2EE23TrivialOffsetCalculatorILi1EjESF_NS8_15LoadWithoutCastENS8_16StoreWithoutCastELi4ELi1EEEEEvT0_T1_.num_agpr)
	.set _ZN2at6native29vectorized_elementwise_kernelILi8EZZZNS0_12_GLOBAL__N_121bessel_y1_kernel_cudaERNS_18TensorIteratorBaseEENKUlvE_clEvENKUlvE0_clEvEUlfE_St5arrayIPcLm2EEEEviT0_T1_.numbered_sgpr, max(33, .L_ZN2at6native25elementwise_kernel_helperILb0EZZZNS0_12_GLOBAL__N_121bessel_y1_kernel_cudaERNS_18TensorIteratorBaseEENKUlvE_clEvENKUlvE0_clEvEUlfE_NS0_6memory8policies10vectorizedILi4ESt5arrayIPcLm2EELi4EEEEEvT0_T1_.numbered_sgpr, .L_ZN2at6native25elementwise_kernel_helperILb0EZZZNS0_12_GLOBAL__N_121bessel_y1_kernel_cudaERNS_18TensorIteratorBaseEENKUlvE_clEvENKUlvE0_clEvEUlfE_NS0_6memory8policies11unroll_baseILi256ESt5arrayIPcLm2EE23TrivialOffsetCalculatorILi1EjESF_NS8_15LoadWithoutCastENS8_16StoreWithoutCastELi4ELi1EEEEEvT0_T1_.numbered_sgpr)
	.set _ZN2at6native29vectorized_elementwise_kernelILi8EZZZNS0_12_GLOBAL__N_121bessel_y1_kernel_cudaERNS_18TensorIteratorBaseEENKUlvE_clEvENKUlvE0_clEvEUlfE_St5arrayIPcLm2EEEEviT0_T1_.num_named_barrier, max(0, .L_ZN2at6native25elementwise_kernel_helperILb0EZZZNS0_12_GLOBAL__N_121bessel_y1_kernel_cudaERNS_18TensorIteratorBaseEENKUlvE_clEvENKUlvE0_clEvEUlfE_NS0_6memory8policies10vectorizedILi4ESt5arrayIPcLm2EELi4EEEEEvT0_T1_.num_named_barrier, .L_ZN2at6native25elementwise_kernel_helperILb0EZZZNS0_12_GLOBAL__N_121bessel_y1_kernel_cudaERNS_18TensorIteratorBaseEENKUlvE_clEvENKUlvE0_clEvEUlfE_NS0_6memory8policies11unroll_baseILi256ESt5arrayIPcLm2EE23TrivialOffsetCalculatorILi1EjESF_NS8_15LoadWithoutCastENS8_16StoreWithoutCastELi4ELi1EEEEEvT0_T1_.num_named_barrier)
	.set _ZN2at6native29vectorized_elementwise_kernelILi8EZZZNS0_12_GLOBAL__N_121bessel_y1_kernel_cudaERNS_18TensorIteratorBaseEENKUlvE_clEvENKUlvE0_clEvEUlfE_St5arrayIPcLm2EEEEviT0_T1_.private_seg_size, 0+max(.L_ZN2at6native25elementwise_kernel_helperILb0EZZZNS0_12_GLOBAL__N_121bessel_y1_kernel_cudaERNS_18TensorIteratorBaseEENKUlvE_clEvENKUlvE0_clEvEUlfE_NS0_6memory8policies10vectorizedILi4ESt5arrayIPcLm2EELi4EEEEEvT0_T1_.private_seg_size, .L_ZN2at6native25elementwise_kernel_helperILb0EZZZNS0_12_GLOBAL__N_121bessel_y1_kernel_cudaERNS_18TensorIteratorBaseEENKUlvE_clEvENKUlvE0_clEvEUlfE_NS0_6memory8policies11unroll_baseILi256ESt5arrayIPcLm2EE23TrivialOffsetCalculatorILi1EjESF_NS8_15LoadWithoutCastENS8_16StoreWithoutCastELi4ELi1EEEEEvT0_T1_.private_seg_size)
	.set _ZN2at6native29vectorized_elementwise_kernelILi8EZZZNS0_12_GLOBAL__N_121bessel_y1_kernel_cudaERNS_18TensorIteratorBaseEENKUlvE_clEvENKUlvE0_clEvEUlfE_St5arrayIPcLm2EEEEviT0_T1_.uses_vcc, or(1, .L_ZN2at6native25elementwise_kernel_helperILb0EZZZNS0_12_GLOBAL__N_121bessel_y1_kernel_cudaERNS_18TensorIteratorBaseEENKUlvE_clEvENKUlvE0_clEvEUlfE_NS0_6memory8policies10vectorizedILi4ESt5arrayIPcLm2EELi4EEEEEvT0_T1_.uses_vcc, .L_ZN2at6native25elementwise_kernel_helperILb0EZZZNS0_12_GLOBAL__N_121bessel_y1_kernel_cudaERNS_18TensorIteratorBaseEENKUlvE_clEvENKUlvE0_clEvEUlfE_NS0_6memory8policies11unroll_baseILi256ESt5arrayIPcLm2EE23TrivialOffsetCalculatorILi1EjESF_NS8_15LoadWithoutCastENS8_16StoreWithoutCastELi4ELi1EEEEEvT0_T1_.uses_vcc)
	.set _ZN2at6native29vectorized_elementwise_kernelILi8EZZZNS0_12_GLOBAL__N_121bessel_y1_kernel_cudaERNS_18TensorIteratorBaseEENKUlvE_clEvENKUlvE0_clEvEUlfE_St5arrayIPcLm2EEEEviT0_T1_.uses_flat_scratch, or(0, .L_ZN2at6native25elementwise_kernel_helperILb0EZZZNS0_12_GLOBAL__N_121bessel_y1_kernel_cudaERNS_18TensorIteratorBaseEENKUlvE_clEvENKUlvE0_clEvEUlfE_NS0_6memory8policies10vectorizedILi4ESt5arrayIPcLm2EELi4EEEEEvT0_T1_.uses_flat_scratch, .L_ZN2at6native25elementwise_kernel_helperILb0EZZZNS0_12_GLOBAL__N_121bessel_y1_kernel_cudaERNS_18TensorIteratorBaseEENKUlvE_clEvENKUlvE0_clEvEUlfE_NS0_6memory8policies11unroll_baseILi256ESt5arrayIPcLm2EE23TrivialOffsetCalculatorILi1EjESF_NS8_15LoadWithoutCastENS8_16StoreWithoutCastELi4ELi1EEEEEvT0_T1_.uses_flat_scratch)
	.set _ZN2at6native29vectorized_elementwise_kernelILi8EZZZNS0_12_GLOBAL__N_121bessel_y1_kernel_cudaERNS_18TensorIteratorBaseEENKUlvE_clEvENKUlvE0_clEvEUlfE_St5arrayIPcLm2EEEEviT0_T1_.has_dyn_sized_stack, or(0, .L_ZN2at6native25elementwise_kernel_helperILb0EZZZNS0_12_GLOBAL__N_121bessel_y1_kernel_cudaERNS_18TensorIteratorBaseEENKUlvE_clEvENKUlvE0_clEvEUlfE_NS0_6memory8policies10vectorizedILi4ESt5arrayIPcLm2EELi4EEEEEvT0_T1_.has_dyn_sized_stack, .L_ZN2at6native25elementwise_kernel_helperILb0EZZZNS0_12_GLOBAL__N_121bessel_y1_kernel_cudaERNS_18TensorIteratorBaseEENKUlvE_clEvENKUlvE0_clEvEUlfE_NS0_6memory8policies11unroll_baseILi256ESt5arrayIPcLm2EE23TrivialOffsetCalculatorILi1EjESF_NS8_15LoadWithoutCastENS8_16StoreWithoutCastELi4ELi1EEEEEvT0_T1_.has_dyn_sized_stack)
	.set _ZN2at6native29vectorized_elementwise_kernelILi8EZZZNS0_12_GLOBAL__N_121bessel_y1_kernel_cudaERNS_18TensorIteratorBaseEENKUlvE_clEvENKUlvE0_clEvEUlfE_St5arrayIPcLm2EEEEviT0_T1_.has_recursion, or(0, .L_ZN2at6native25elementwise_kernel_helperILb0EZZZNS0_12_GLOBAL__N_121bessel_y1_kernel_cudaERNS_18TensorIteratorBaseEENKUlvE_clEvENKUlvE0_clEvEUlfE_NS0_6memory8policies10vectorizedILi4ESt5arrayIPcLm2EELi4EEEEEvT0_T1_.has_recursion, .L_ZN2at6native25elementwise_kernel_helperILb0EZZZNS0_12_GLOBAL__N_121bessel_y1_kernel_cudaERNS_18TensorIteratorBaseEENKUlvE_clEvENKUlvE0_clEvEUlfE_NS0_6memory8policies11unroll_baseILi256ESt5arrayIPcLm2EE23TrivialOffsetCalculatorILi1EjESF_NS8_15LoadWithoutCastENS8_16StoreWithoutCastELi4ELi1EEEEEvT0_T1_.has_recursion)
	.set _ZN2at6native29vectorized_elementwise_kernelILi8EZZZNS0_12_GLOBAL__N_121bessel_y1_kernel_cudaERNS_18TensorIteratorBaseEENKUlvE_clEvENKUlvE0_clEvEUlfE_St5arrayIPcLm2EEEEviT0_T1_.has_indirect_call, or(0, .L_ZN2at6native25elementwise_kernel_helperILb0EZZZNS0_12_GLOBAL__N_121bessel_y1_kernel_cudaERNS_18TensorIteratorBaseEENKUlvE_clEvENKUlvE0_clEvEUlfE_NS0_6memory8policies10vectorizedILi4ESt5arrayIPcLm2EELi4EEEEEvT0_T1_.has_indirect_call, .L_ZN2at6native25elementwise_kernel_helperILb0EZZZNS0_12_GLOBAL__N_121bessel_y1_kernel_cudaERNS_18TensorIteratorBaseEENKUlvE_clEvENKUlvE0_clEvEUlfE_NS0_6memory8policies11unroll_baseILi256ESt5arrayIPcLm2EE23TrivialOffsetCalculatorILi1EjESF_NS8_15LoadWithoutCastENS8_16StoreWithoutCastELi4ELi1EEEEEvT0_T1_.has_indirect_call)
	.section	.AMDGPU.csdata,"",@progbits
; Kernel info:
; codeLenInByte = 164
; TotalNumSgprs: 39
; NumVgprs: 32
; NumAgprs: 0
; TotalNumVgprs: 32
; ScratchSize: 0
; MemoryBound: 0
; FloatMode: 240
; IeeeMode: 1
; LDSByteSize: 0 bytes/workgroup (compile time only)
; SGPRBlocks: 4
; VGPRBlocks: 3
; NumSGPRsForWavesPerEU: 39
; NumVGPRsForWavesPerEU: 32
; AccumOffset: 32
; Occupancy: 8
; WaveLimiterHint : 0
; COMPUTE_PGM_RSRC2:SCRATCH_EN: 0
; COMPUTE_PGM_RSRC2:USER_SGPR: 2
; COMPUTE_PGM_RSRC2:TRAP_HANDLER: 0
; COMPUTE_PGM_RSRC2:TGID_X_EN: 1
; COMPUTE_PGM_RSRC2:TGID_Y_EN: 0
; COMPUTE_PGM_RSRC2:TGID_Z_EN: 0
; COMPUTE_PGM_RSRC2:TIDIG_COMP_CNT: 0
; COMPUTE_PGM_RSRC3_GFX90A:ACCUM_OFFSET: 7
; COMPUTE_PGM_RSRC3_GFX90A:TG_SPLIT: 0
	.section	.text._ZN2at6native29vectorized_elementwise_kernelILi4EZZZNS0_12_GLOBAL__N_121bessel_y1_kernel_cudaERNS_18TensorIteratorBaseEENKUlvE_clEvENKUlvE0_clEvEUlfE_St5arrayIPcLm2EEEEviT0_T1_,"axG",@progbits,_ZN2at6native29vectorized_elementwise_kernelILi4EZZZNS0_12_GLOBAL__N_121bessel_y1_kernel_cudaERNS_18TensorIteratorBaseEENKUlvE_clEvENKUlvE0_clEvEUlfE_St5arrayIPcLm2EEEEviT0_T1_,comdat
	.globl	_ZN2at6native29vectorized_elementwise_kernelILi4EZZZNS0_12_GLOBAL__N_121bessel_y1_kernel_cudaERNS_18TensorIteratorBaseEENKUlvE_clEvENKUlvE0_clEvEUlfE_St5arrayIPcLm2EEEEviT0_T1_ ; -- Begin function _ZN2at6native29vectorized_elementwise_kernelILi4EZZZNS0_12_GLOBAL__N_121bessel_y1_kernel_cudaERNS_18TensorIteratorBaseEENKUlvE_clEvENKUlvE0_clEvEUlfE_St5arrayIPcLm2EEEEviT0_T1_
	.p2align	8
	.type	_ZN2at6native29vectorized_elementwise_kernelILi4EZZZNS0_12_GLOBAL__N_121bessel_y1_kernel_cudaERNS_18TensorIteratorBaseEENKUlvE_clEvENKUlvE0_clEvEUlfE_St5arrayIPcLm2EEEEviT0_T1_,@function
_ZN2at6native29vectorized_elementwise_kernelILi4EZZZNS0_12_GLOBAL__N_121bessel_y1_kernel_cudaERNS_18TensorIteratorBaseEENKUlvE_clEvENKUlvE0_clEvEUlfE_St5arrayIPcLm2EEEEviT0_T1_: ; @_ZN2at6native29vectorized_elementwise_kernelILi4EZZZNS0_12_GLOBAL__N_121bessel_y1_kernel_cudaERNS_18TensorIteratorBaseEENKUlvE_clEvENKUlvE0_clEvEUlfE_St5arrayIPcLm2EEEEviT0_T1_
; %bb.0:
	s_mov_b32 s14, s2
	s_load_dword s2, s[0:1], 0x0
	s_load_dwordx4 s[16:19], s[0:1], 0x8
	s_lshl_b32 s0, s14, 10
	v_mov_b32_e32 v31, v0
	s_mov_b32 s32, 0
	s_waitcnt lgkmcnt(0)
	s_sub_i32 s15, s2, s0
	s_cmpk_gt_i32 s15, 0x3ff
	s_mov_b64 s[0:1], -1
	s_cbranch_scc1 .LBB16_3
; %bb.1:
	s_andn2_b64 vcc, exec, s[0:1]
	s_cbranch_vccz .LBB16_4
.LBB16_2:
	s_endpgm
.LBB16_3:
	s_getpc_b64 s[0:1]
	s_add_u32 s0, s0, _ZN2at6native25elementwise_kernel_helperILb0EZZZNS0_12_GLOBAL__N_121bessel_y1_kernel_cudaERNS_18TensorIteratorBaseEENKUlvE_clEvENKUlvE0_clEvEUlfE_NS0_6memory8policies10vectorizedILi4ESt5arrayIPcLm2EELi4EEEEEvT0_T1_@rel32@lo+4
	s_addc_u32 s1, s1, _ZN2at6native25elementwise_kernel_helperILb0EZZZNS0_12_GLOBAL__N_121bessel_y1_kernel_cudaERNS_18TensorIteratorBaseEENKUlvE_clEvENKUlvE0_clEvEUlfE_NS0_6memory8policies10vectorizedILi4ESt5arrayIPcLm2EELi4EEEEEvT0_T1_@rel32@hi+12
	s_mov_b32 s12, s14
	v_mov_b32_e32 v0, s16
	v_mov_b32_e32 v1, s17
	;; [unrolled: 1-line block ×4, first 2 shown]
	s_swappc_b64 s[30:31], s[0:1]
	s_cbranch_execnz .LBB16_2
.LBB16_4:
	s_getpc_b64 s[0:1]
	s_add_u32 s0, s0, _ZN2at6native25elementwise_kernel_helperILb0EZZZNS0_12_GLOBAL__N_121bessel_y1_kernel_cudaERNS_18TensorIteratorBaseEENKUlvE_clEvENKUlvE0_clEvEUlfE_NS0_6memory8policies11unroll_baseILi256ESt5arrayIPcLm2EE23TrivialOffsetCalculatorILi1EjESF_NS8_15LoadWithoutCastENS8_16StoreWithoutCastELi4ELi1EEEEEvT0_T1_@rel32@lo+4
	s_addc_u32 s1, s1, _ZN2at6native25elementwise_kernel_helperILb0EZZZNS0_12_GLOBAL__N_121bessel_y1_kernel_cudaERNS_18TensorIteratorBaseEENKUlvE_clEvENKUlvE0_clEvEUlfE_NS0_6memory8policies11unroll_baseILi256ESt5arrayIPcLm2EE23TrivialOffsetCalculatorILi1EjESF_NS8_15LoadWithoutCastENS8_16StoreWithoutCastELi4ELi1EEEEEvT0_T1_@rel32@hi+12
	s_mov_b32 s12, s14
	v_mov_b32_e32 v0, s16
	v_mov_b32_e32 v1, s17
	;; [unrolled: 1-line block ×5, first 2 shown]
	s_swappc_b64 s[30:31], s[0:1]
	s_endpgm
	.section	.rodata,"a",@progbits
	.p2align	6, 0x0
	.amdhsa_kernel _ZN2at6native29vectorized_elementwise_kernelILi4EZZZNS0_12_GLOBAL__N_121bessel_y1_kernel_cudaERNS_18TensorIteratorBaseEENKUlvE_clEvENKUlvE0_clEvEUlfE_St5arrayIPcLm2EEEEviT0_T1_
		.amdhsa_group_segment_fixed_size 0
		.amdhsa_private_segment_fixed_size 0
		.amdhsa_kernarg_size 24
		.amdhsa_user_sgpr_count 2
		.amdhsa_user_sgpr_dispatch_ptr 0
		.amdhsa_user_sgpr_queue_ptr 0
		.amdhsa_user_sgpr_kernarg_segment_ptr 1
		.amdhsa_user_sgpr_dispatch_id 0
		.amdhsa_user_sgpr_kernarg_preload_length 0
		.amdhsa_user_sgpr_kernarg_preload_offset 0
		.amdhsa_user_sgpr_private_segment_size 0
		.amdhsa_uses_dynamic_stack 0
		.amdhsa_enable_private_segment 0
		.amdhsa_system_sgpr_workgroup_id_x 1
		.amdhsa_system_sgpr_workgroup_id_y 0
		.amdhsa_system_sgpr_workgroup_id_z 0
		.amdhsa_system_sgpr_workgroup_info 0
		.amdhsa_system_vgpr_workitem_id 0
		.amdhsa_next_free_vgpr 32
		.amdhsa_next_free_sgpr 33
		.amdhsa_accum_offset 32
		.amdhsa_reserve_vcc 1
		.amdhsa_float_round_mode_32 0
		.amdhsa_float_round_mode_16_64 0
		.amdhsa_float_denorm_mode_32 3
		.amdhsa_float_denorm_mode_16_64 3
		.amdhsa_dx10_clamp 1
		.amdhsa_ieee_mode 1
		.amdhsa_fp16_overflow 0
		.amdhsa_tg_split 0
		.amdhsa_exception_fp_ieee_invalid_op 0
		.amdhsa_exception_fp_denorm_src 0
		.amdhsa_exception_fp_ieee_div_zero 0
		.amdhsa_exception_fp_ieee_overflow 0
		.amdhsa_exception_fp_ieee_underflow 0
		.amdhsa_exception_fp_ieee_inexact 0
		.amdhsa_exception_int_div_zero 0
	.end_amdhsa_kernel
	.section	.text._ZN2at6native29vectorized_elementwise_kernelILi4EZZZNS0_12_GLOBAL__N_121bessel_y1_kernel_cudaERNS_18TensorIteratorBaseEENKUlvE_clEvENKUlvE0_clEvEUlfE_St5arrayIPcLm2EEEEviT0_T1_,"axG",@progbits,_ZN2at6native29vectorized_elementwise_kernelILi4EZZZNS0_12_GLOBAL__N_121bessel_y1_kernel_cudaERNS_18TensorIteratorBaseEENKUlvE_clEvENKUlvE0_clEvEUlfE_St5arrayIPcLm2EEEEviT0_T1_,comdat
.Lfunc_end16:
	.size	_ZN2at6native29vectorized_elementwise_kernelILi4EZZZNS0_12_GLOBAL__N_121bessel_y1_kernel_cudaERNS_18TensorIteratorBaseEENKUlvE_clEvENKUlvE0_clEvEUlfE_St5arrayIPcLm2EEEEviT0_T1_, .Lfunc_end16-_ZN2at6native29vectorized_elementwise_kernelILi4EZZZNS0_12_GLOBAL__N_121bessel_y1_kernel_cudaERNS_18TensorIteratorBaseEENKUlvE_clEvENKUlvE0_clEvEUlfE_St5arrayIPcLm2EEEEviT0_T1_
                                        ; -- End function
	.set _ZN2at6native29vectorized_elementwise_kernelILi4EZZZNS0_12_GLOBAL__N_121bessel_y1_kernel_cudaERNS_18TensorIteratorBaseEENKUlvE_clEvENKUlvE0_clEvEUlfE_St5arrayIPcLm2EEEEviT0_T1_.num_vgpr, max(32, .L_ZN2at6native25elementwise_kernel_helperILb0EZZZNS0_12_GLOBAL__N_121bessel_y1_kernel_cudaERNS_18TensorIteratorBaseEENKUlvE_clEvENKUlvE0_clEvEUlfE_NS0_6memory8policies10vectorizedILi4ESt5arrayIPcLm2EELi4EEEEEvT0_T1_.num_vgpr, .L_ZN2at6native25elementwise_kernel_helperILb0EZZZNS0_12_GLOBAL__N_121bessel_y1_kernel_cudaERNS_18TensorIteratorBaseEENKUlvE_clEvENKUlvE0_clEvEUlfE_NS0_6memory8policies11unroll_baseILi256ESt5arrayIPcLm2EE23TrivialOffsetCalculatorILi1EjESF_NS8_15LoadWithoutCastENS8_16StoreWithoutCastELi4ELi1EEEEEvT0_T1_.num_vgpr)
	.set _ZN2at6native29vectorized_elementwise_kernelILi4EZZZNS0_12_GLOBAL__N_121bessel_y1_kernel_cudaERNS_18TensorIteratorBaseEENKUlvE_clEvENKUlvE0_clEvEUlfE_St5arrayIPcLm2EEEEviT0_T1_.num_agpr, max(0, .L_ZN2at6native25elementwise_kernel_helperILb0EZZZNS0_12_GLOBAL__N_121bessel_y1_kernel_cudaERNS_18TensorIteratorBaseEENKUlvE_clEvENKUlvE0_clEvEUlfE_NS0_6memory8policies10vectorizedILi4ESt5arrayIPcLm2EELi4EEEEEvT0_T1_.num_agpr, .L_ZN2at6native25elementwise_kernel_helperILb0EZZZNS0_12_GLOBAL__N_121bessel_y1_kernel_cudaERNS_18TensorIteratorBaseEENKUlvE_clEvENKUlvE0_clEvEUlfE_NS0_6memory8policies11unroll_baseILi256ESt5arrayIPcLm2EE23TrivialOffsetCalculatorILi1EjESF_NS8_15LoadWithoutCastENS8_16StoreWithoutCastELi4ELi1EEEEEvT0_T1_.num_agpr)
	.set _ZN2at6native29vectorized_elementwise_kernelILi4EZZZNS0_12_GLOBAL__N_121bessel_y1_kernel_cudaERNS_18TensorIteratorBaseEENKUlvE_clEvENKUlvE0_clEvEUlfE_St5arrayIPcLm2EEEEviT0_T1_.numbered_sgpr, max(33, .L_ZN2at6native25elementwise_kernel_helperILb0EZZZNS0_12_GLOBAL__N_121bessel_y1_kernel_cudaERNS_18TensorIteratorBaseEENKUlvE_clEvENKUlvE0_clEvEUlfE_NS0_6memory8policies10vectorizedILi4ESt5arrayIPcLm2EELi4EEEEEvT0_T1_.numbered_sgpr, .L_ZN2at6native25elementwise_kernel_helperILb0EZZZNS0_12_GLOBAL__N_121bessel_y1_kernel_cudaERNS_18TensorIteratorBaseEENKUlvE_clEvENKUlvE0_clEvEUlfE_NS0_6memory8policies11unroll_baseILi256ESt5arrayIPcLm2EE23TrivialOffsetCalculatorILi1EjESF_NS8_15LoadWithoutCastENS8_16StoreWithoutCastELi4ELi1EEEEEvT0_T1_.numbered_sgpr)
	.set _ZN2at6native29vectorized_elementwise_kernelILi4EZZZNS0_12_GLOBAL__N_121bessel_y1_kernel_cudaERNS_18TensorIteratorBaseEENKUlvE_clEvENKUlvE0_clEvEUlfE_St5arrayIPcLm2EEEEviT0_T1_.num_named_barrier, max(0, .L_ZN2at6native25elementwise_kernel_helperILb0EZZZNS0_12_GLOBAL__N_121bessel_y1_kernel_cudaERNS_18TensorIteratorBaseEENKUlvE_clEvENKUlvE0_clEvEUlfE_NS0_6memory8policies10vectorizedILi4ESt5arrayIPcLm2EELi4EEEEEvT0_T1_.num_named_barrier, .L_ZN2at6native25elementwise_kernel_helperILb0EZZZNS0_12_GLOBAL__N_121bessel_y1_kernel_cudaERNS_18TensorIteratorBaseEENKUlvE_clEvENKUlvE0_clEvEUlfE_NS0_6memory8policies11unroll_baseILi256ESt5arrayIPcLm2EE23TrivialOffsetCalculatorILi1EjESF_NS8_15LoadWithoutCastENS8_16StoreWithoutCastELi4ELi1EEEEEvT0_T1_.num_named_barrier)
	.set _ZN2at6native29vectorized_elementwise_kernelILi4EZZZNS0_12_GLOBAL__N_121bessel_y1_kernel_cudaERNS_18TensorIteratorBaseEENKUlvE_clEvENKUlvE0_clEvEUlfE_St5arrayIPcLm2EEEEviT0_T1_.private_seg_size, 0+max(.L_ZN2at6native25elementwise_kernel_helperILb0EZZZNS0_12_GLOBAL__N_121bessel_y1_kernel_cudaERNS_18TensorIteratorBaseEENKUlvE_clEvENKUlvE0_clEvEUlfE_NS0_6memory8policies10vectorizedILi4ESt5arrayIPcLm2EELi4EEEEEvT0_T1_.private_seg_size, .L_ZN2at6native25elementwise_kernel_helperILb0EZZZNS0_12_GLOBAL__N_121bessel_y1_kernel_cudaERNS_18TensorIteratorBaseEENKUlvE_clEvENKUlvE0_clEvEUlfE_NS0_6memory8policies11unroll_baseILi256ESt5arrayIPcLm2EE23TrivialOffsetCalculatorILi1EjESF_NS8_15LoadWithoutCastENS8_16StoreWithoutCastELi4ELi1EEEEEvT0_T1_.private_seg_size)
	.set _ZN2at6native29vectorized_elementwise_kernelILi4EZZZNS0_12_GLOBAL__N_121bessel_y1_kernel_cudaERNS_18TensorIteratorBaseEENKUlvE_clEvENKUlvE0_clEvEUlfE_St5arrayIPcLm2EEEEviT0_T1_.uses_vcc, or(1, .L_ZN2at6native25elementwise_kernel_helperILb0EZZZNS0_12_GLOBAL__N_121bessel_y1_kernel_cudaERNS_18TensorIteratorBaseEENKUlvE_clEvENKUlvE0_clEvEUlfE_NS0_6memory8policies10vectorizedILi4ESt5arrayIPcLm2EELi4EEEEEvT0_T1_.uses_vcc, .L_ZN2at6native25elementwise_kernel_helperILb0EZZZNS0_12_GLOBAL__N_121bessel_y1_kernel_cudaERNS_18TensorIteratorBaseEENKUlvE_clEvENKUlvE0_clEvEUlfE_NS0_6memory8policies11unroll_baseILi256ESt5arrayIPcLm2EE23TrivialOffsetCalculatorILi1EjESF_NS8_15LoadWithoutCastENS8_16StoreWithoutCastELi4ELi1EEEEEvT0_T1_.uses_vcc)
	.set _ZN2at6native29vectorized_elementwise_kernelILi4EZZZNS0_12_GLOBAL__N_121bessel_y1_kernel_cudaERNS_18TensorIteratorBaseEENKUlvE_clEvENKUlvE0_clEvEUlfE_St5arrayIPcLm2EEEEviT0_T1_.uses_flat_scratch, or(0, .L_ZN2at6native25elementwise_kernel_helperILb0EZZZNS0_12_GLOBAL__N_121bessel_y1_kernel_cudaERNS_18TensorIteratorBaseEENKUlvE_clEvENKUlvE0_clEvEUlfE_NS0_6memory8policies10vectorizedILi4ESt5arrayIPcLm2EELi4EEEEEvT0_T1_.uses_flat_scratch, .L_ZN2at6native25elementwise_kernel_helperILb0EZZZNS0_12_GLOBAL__N_121bessel_y1_kernel_cudaERNS_18TensorIteratorBaseEENKUlvE_clEvENKUlvE0_clEvEUlfE_NS0_6memory8policies11unroll_baseILi256ESt5arrayIPcLm2EE23TrivialOffsetCalculatorILi1EjESF_NS8_15LoadWithoutCastENS8_16StoreWithoutCastELi4ELi1EEEEEvT0_T1_.uses_flat_scratch)
	.set _ZN2at6native29vectorized_elementwise_kernelILi4EZZZNS0_12_GLOBAL__N_121bessel_y1_kernel_cudaERNS_18TensorIteratorBaseEENKUlvE_clEvENKUlvE0_clEvEUlfE_St5arrayIPcLm2EEEEviT0_T1_.has_dyn_sized_stack, or(0, .L_ZN2at6native25elementwise_kernel_helperILb0EZZZNS0_12_GLOBAL__N_121bessel_y1_kernel_cudaERNS_18TensorIteratorBaseEENKUlvE_clEvENKUlvE0_clEvEUlfE_NS0_6memory8policies10vectorizedILi4ESt5arrayIPcLm2EELi4EEEEEvT0_T1_.has_dyn_sized_stack, .L_ZN2at6native25elementwise_kernel_helperILb0EZZZNS0_12_GLOBAL__N_121bessel_y1_kernel_cudaERNS_18TensorIteratorBaseEENKUlvE_clEvENKUlvE0_clEvEUlfE_NS0_6memory8policies11unroll_baseILi256ESt5arrayIPcLm2EE23TrivialOffsetCalculatorILi1EjESF_NS8_15LoadWithoutCastENS8_16StoreWithoutCastELi4ELi1EEEEEvT0_T1_.has_dyn_sized_stack)
	.set _ZN2at6native29vectorized_elementwise_kernelILi4EZZZNS0_12_GLOBAL__N_121bessel_y1_kernel_cudaERNS_18TensorIteratorBaseEENKUlvE_clEvENKUlvE0_clEvEUlfE_St5arrayIPcLm2EEEEviT0_T1_.has_recursion, or(0, .L_ZN2at6native25elementwise_kernel_helperILb0EZZZNS0_12_GLOBAL__N_121bessel_y1_kernel_cudaERNS_18TensorIteratorBaseEENKUlvE_clEvENKUlvE0_clEvEUlfE_NS0_6memory8policies10vectorizedILi4ESt5arrayIPcLm2EELi4EEEEEvT0_T1_.has_recursion, .L_ZN2at6native25elementwise_kernel_helperILb0EZZZNS0_12_GLOBAL__N_121bessel_y1_kernel_cudaERNS_18TensorIteratorBaseEENKUlvE_clEvENKUlvE0_clEvEUlfE_NS0_6memory8policies11unroll_baseILi256ESt5arrayIPcLm2EE23TrivialOffsetCalculatorILi1EjESF_NS8_15LoadWithoutCastENS8_16StoreWithoutCastELi4ELi1EEEEEvT0_T1_.has_recursion)
	.set _ZN2at6native29vectorized_elementwise_kernelILi4EZZZNS0_12_GLOBAL__N_121bessel_y1_kernel_cudaERNS_18TensorIteratorBaseEENKUlvE_clEvENKUlvE0_clEvEUlfE_St5arrayIPcLm2EEEEviT0_T1_.has_indirect_call, or(0, .L_ZN2at6native25elementwise_kernel_helperILb0EZZZNS0_12_GLOBAL__N_121bessel_y1_kernel_cudaERNS_18TensorIteratorBaseEENKUlvE_clEvENKUlvE0_clEvEUlfE_NS0_6memory8policies10vectorizedILi4ESt5arrayIPcLm2EELi4EEEEEvT0_T1_.has_indirect_call, .L_ZN2at6native25elementwise_kernel_helperILb0EZZZNS0_12_GLOBAL__N_121bessel_y1_kernel_cudaERNS_18TensorIteratorBaseEENKUlvE_clEvENKUlvE0_clEvEUlfE_NS0_6memory8policies11unroll_baseILi256ESt5arrayIPcLm2EE23TrivialOffsetCalculatorILi1EjESF_NS8_15LoadWithoutCastENS8_16StoreWithoutCastELi4ELi1EEEEEvT0_T1_.has_indirect_call)
	.section	.AMDGPU.csdata,"",@progbits
; Kernel info:
; codeLenInByte = 164
; TotalNumSgprs: 39
; NumVgprs: 32
; NumAgprs: 0
; TotalNumVgprs: 32
; ScratchSize: 0
; MemoryBound: 0
; FloatMode: 240
; IeeeMode: 1
; LDSByteSize: 0 bytes/workgroup (compile time only)
; SGPRBlocks: 4
; VGPRBlocks: 3
; NumSGPRsForWavesPerEU: 39
; NumVGPRsForWavesPerEU: 32
; AccumOffset: 32
; Occupancy: 8
; WaveLimiterHint : 0
; COMPUTE_PGM_RSRC2:SCRATCH_EN: 0
; COMPUTE_PGM_RSRC2:USER_SGPR: 2
; COMPUTE_PGM_RSRC2:TRAP_HANDLER: 0
; COMPUTE_PGM_RSRC2:TGID_X_EN: 1
; COMPUTE_PGM_RSRC2:TGID_Y_EN: 0
; COMPUTE_PGM_RSRC2:TGID_Z_EN: 0
; COMPUTE_PGM_RSRC2:TIDIG_COMP_CNT: 0
; COMPUTE_PGM_RSRC3_GFX90A:ACCUM_OFFSET: 7
; COMPUTE_PGM_RSRC3_GFX90A:TG_SPLIT: 0
	.section	.text._ZN2at6native29vectorized_elementwise_kernelILi2EZZZNS0_12_GLOBAL__N_121bessel_y1_kernel_cudaERNS_18TensorIteratorBaseEENKUlvE_clEvENKUlvE0_clEvEUlfE_St5arrayIPcLm2EEEEviT0_T1_,"axG",@progbits,_ZN2at6native29vectorized_elementwise_kernelILi2EZZZNS0_12_GLOBAL__N_121bessel_y1_kernel_cudaERNS_18TensorIteratorBaseEENKUlvE_clEvENKUlvE0_clEvEUlfE_St5arrayIPcLm2EEEEviT0_T1_,comdat
	.globl	_ZN2at6native29vectorized_elementwise_kernelILi2EZZZNS0_12_GLOBAL__N_121bessel_y1_kernel_cudaERNS_18TensorIteratorBaseEENKUlvE_clEvENKUlvE0_clEvEUlfE_St5arrayIPcLm2EEEEviT0_T1_ ; -- Begin function _ZN2at6native29vectorized_elementwise_kernelILi2EZZZNS0_12_GLOBAL__N_121bessel_y1_kernel_cudaERNS_18TensorIteratorBaseEENKUlvE_clEvENKUlvE0_clEvEUlfE_St5arrayIPcLm2EEEEviT0_T1_
	.p2align	8
	.type	_ZN2at6native29vectorized_elementwise_kernelILi2EZZZNS0_12_GLOBAL__N_121bessel_y1_kernel_cudaERNS_18TensorIteratorBaseEENKUlvE_clEvENKUlvE0_clEvEUlfE_St5arrayIPcLm2EEEEviT0_T1_,@function
_ZN2at6native29vectorized_elementwise_kernelILi2EZZZNS0_12_GLOBAL__N_121bessel_y1_kernel_cudaERNS_18TensorIteratorBaseEENKUlvE_clEvENKUlvE0_clEvEUlfE_St5arrayIPcLm2EEEEviT0_T1_: ; @_ZN2at6native29vectorized_elementwise_kernelILi2EZZZNS0_12_GLOBAL__N_121bessel_y1_kernel_cudaERNS_18TensorIteratorBaseEENKUlvE_clEvENKUlvE0_clEvEUlfE_St5arrayIPcLm2EEEEviT0_T1_
; %bb.0:
	s_load_dword s3, s[0:1], 0x0
	s_load_dwordx4 s[8:11], s[0:1], 0x8
	s_lshl_b32 s0, s2, 10
	s_mov_b64 s[4:5], -1
	s_mov_b32 s32, 0
	s_waitcnt lgkmcnt(0)
	s_sub_i32 s3, s3, s0
	s_cmpk_gt_i32 s3, 0x3ff
	s_cbranch_scc0 .LBB17_10
; %bb.1:
	s_ashr_i32 s1, s0, 31
	s_lshl_b64 s[12:13], s[0:1], 2
	s_add_u32 s0, s10, s12
	s_addc_u32 s1, s11, s13
	v_lshlrev_b32_e32 v1, 3, v0
	global_load_dwordx2 v[6:7], v1, s[0:1]
	global_load_dwordx2 v[2:3], v1, s[0:1] offset:2048
	s_mov_b32 s0, 0x40a00000
                                        ; implicit-def: $vgpr4
	s_waitcnt vmcnt(1)
	v_cmp_ge_f32_e32 vcc, s0, v6
	s_and_saveexec_b64 s[0:1], vcc
	s_xor_b64 s[4:5], exec, s[0:1]
	s_cbranch_execz .LBB17_7
; %bb.2:
	v_cmp_neq_f32_e32 vcc, 0, v6
	v_mov_b32_e32 v4, 0xff800000
	s_and_saveexec_b64 s[6:7], vcc
	s_cbranch_execz .LBB17_6
; %bb.3:
	v_cmp_nge_f32_e32 vcc, 0, v6
	v_mov_b32_e32 v4, 0x7fc00000
	s_and_saveexec_b64 s[14:15], vcc
	s_cbranch_execz .LBB17_5
; %bb.4:
	v_mul_f32_e32 v4, v6, v6
	v_mov_b32_e32 v5, 0x4414934d
	v_fmac_f32_e32 v5, 0, v4
	v_fmaak_f32 v5, v4, v5, 0x48660b06
	s_mov_b32 s0, 0x4e9695f3
	v_mul_f32_e32 v8, 0, v4
	v_mul_f32_e32 v9, v4, v5
	s_mov_b32 s1, 0x4c8c277d
	v_pk_add_f32 v[10:11], v[8:9], s[0:1]
	s_mov_b32 s0, 0xd316b96b
	s_mov_b32 s1, 0x508bc61d
	v_pk_fma_f32 v[10:11], v[4:5], v[10:11], s[0:1] op_sel_hi:[0,1,1]
	s_mov_b32 s0, 0x56d04aa6
	s_mov_b32 s1, 0x5461faf8
	v_pk_fma_f32 v[10:11], v[4:5], v[10:11], s[0:1] op_sel_hi:[0,1,1]
	;; [unrolled: 3-line block ×5, first 2 shown]
	v_div_scale_f32 v5, s[0:1], v11, v11, v10
	v_rcp_f32_e32 v12, v5
	s_mov_b32 s0, 0xce5691e2
	s_mov_b32 s1, 0x548a37dc
	v_fma_f32 v9, -v5, v12, 1.0
	v_fmac_f32_e32 v12, v9, v12
	v_div_scale_f32 v9, vcc, v10, v11, v10
	v_mul_f32_e32 v13, v9, v12
	v_fma_f32 v14, -v5, v13, v9
	v_fmac_f32_e32 v13, v14, v12
	v_fma_f32 v5, -v5, v13, v9
	v_mov_b32_e32 v9, 0x441b3589
	v_fmac_f32_e32 v9, 0, v4
	v_fmaak_f32 v9, v4, v9, 0x487af6d0
	v_fmaak_f32 v9, v4, v9, 0x4c9f4aa7
	;; [unrolled: 1-line block ×3, first 2 shown]
	v_mul_f32_e32 v9, v4, v9
	v_pk_add_f32 v[8:9], v[8:9], s[0:1]
	s_mov_b32 s0, 0x52d295d0
	s_mov_b32 s1, 0x58325852
	v_pk_fma_f32 v[8:9], v[4:5], v[8:9], s[0:1] op_sel_hi:[0,1,1]
	s_mov_b32 s0, 0xd6845497
	s_mov_b32 s1, 0x5b9f0600
	v_pk_fma_f32 v[8:9], v[4:5], v[8:9], s[0:1] op_sel_hi:[0,1,1]
	;; [unrolled: 3-line block ×3, first 2 shown]
	v_div_scale_f32 v14, s[0:1], v9, v9, v8
	v_rcp_f32_e32 v15, v14
	v_div_fmas_f32 v5, v5, v12, v13
	v_div_fixup_f32 v10, v5, v11, v10
	s_mov_b32 s0, 0xc244dfb3
	v_fma_f32 v5, -v14, v15, 1.0
	v_fmac_f32_e32 v15, v5, v15
	v_div_scale_f32 v5, vcc, v8, v9, v8
	v_mul_f32_e32 v11, v5, v15
	v_fma_f32 v12, -v14, v11, v5
	v_fmac_f32_e32 v11, v12, v15
	v_fma_f32 v5, -v14, v11, v5
	v_div_fmas_f32 v5, v5, v15, v11
	v_div_fixup_f32 v5, v5, v9, v8
	s_mov_b32 s1, 0xc16ae95a
	v_mul_f32_e32 v8, v6, v5
	v_pk_add_f32 v[4:5], v[4:5], s[0:1] op_sel_hi:[0,1]
	s_mov_b32 s0, 0x800000
	v_cmp_gt_f32_e32 vcc, s0, v6
	v_mul_f32_e32 v5, v5, v8
	v_mul_f32_e32 v4, v4, v5
	v_cndmask_b32_e64 v9, 0, 32, vcc
	v_ldexp_f32 v9, v6, v9
	v_log_f32_e32 v9, v9
	s_mov_b32 s0, 0x3f317217
	v_mov_b32_e32 v11, 0x41b17218
	v_cndmask_b32_e32 v11, 0, v11, vcc
	v_mul_f32_e32 v5, 0x3f317217, v9
	v_fma_f32 v5, v9, s0, -v5
	v_fmamk_f32 v5, v9, 0x3377d1cf, v5
	s_mov_b32 s0, 0x7f800000
	v_fmac_f32_e32 v5, 0x3f317217, v9
	v_cmp_lt_f32_e64 s[0:1], |v9|, s0
	s_nop 1
	v_cndmask_b32_e64 v5, v9, v5, s[0:1]
	v_div_scale_f32 v8, s[0:1], v6, v6, -1.0
	v_rcp_f32_e32 v9, v8
	v_sub_f32_e32 v5, v5, v11
	v_fma_f32 v11, -v8, v9, 1.0
	v_fmac_f32_e32 v9, v11, v9
	v_div_scale_f32 v11, vcc, -1.0, v6, -1.0
	v_mul_f32_e32 v12, v11, v9
	v_fma_f32 v13, -v8, v12, v11
	v_fmac_f32_e32 v12, v13, v9
	v_fma_f32 v8, -v8, v12, v11
	v_div_fmas_f32 v8, v8, v9, v12
	v_div_fixup_f32 v8, v8, v6, -1.0
	v_fmac_f32_e32 v8, v5, v4
	v_mul_f32_e32 v4, 0x3f22f983, v8
	v_fmac_f32_e32 v4, v6, v10
.LBB17_5:
	s_or_b64 exec, exec, s[14:15]
.LBB17_6:
	s_or_b64 exec, exec, s[6:7]
.LBB17_7:
	s_andn2_saveexec_b64 s[14:15], s[4:5]
	s_cbranch_execz .LBB17_19
; %bb.8:
	v_add_f32_e32 v4, 0xc016cbe4, v6
	v_and_b32_e32 v5, 0x7fffffff, v4
	s_brev_b32 s0, 18
	v_cmp_nlt_f32_e64 s[16:17], |v4|, s0
	v_lshrrev_b32_e32 v10, 23, v5
                                        ; implicit-def: $vgpr8
                                        ; implicit-def: $vgpr9
	s_and_saveexec_b64 s[0:1], s[16:17]
	s_xor_b64 s[18:19], exec, s[0:1]
	s_cbranch_execz .LBB17_12
; %bb.9:
	v_add_u32_e32 v8, 0xffffff88, v10
	v_not_b32_e32 v9, 63
	v_cmp_lt_u32_e32 vcc, 63, v8
	s_mov_b32 s6, 0xfe5163ab
	v_mov_b32_e32 v13, 0
	v_cndmask_b32_e32 v9, 0, v9, vcc
	v_add_u32_e32 v8, v9, v8
	v_not_b32_e32 v9, 31
	v_cmp_lt_u32_e64 s[0:1], 31, v8
	s_nop 1
	v_cndmask_b32_e64 v11, 0, v9, s[0:1]
	v_add_u32_e32 v8, v11, v8
	v_cmp_lt_u32_e64 s[4:5], 31, v8
	s_nop 1
	v_cndmask_b32_e64 v9, 0, v9, s[4:5]
	v_add_u32_e32 v11, v9, v8
	v_and_b32_e32 v8, 0x7fffff, v5
	v_or_b32_e32 v24, 0x800000, v8
	v_mad_u64_u32 v[8:9], s[6:7], v24, s6, 0
	v_mov_b32_e32 v12, v9
	s_mov_b32 s6, 0x3c439041
	v_mad_u64_u32 v[14:15], s[6:7], v24, s6, v[12:13]
	v_mov_b32_e32 v12, v15
	s_mov_b32 s6, 0xdb629599
	;; [unrolled: 3-line block ×6, first 2 shown]
	v_mad_u64_u32 v[12:13], s[6:7], v24, s6, v[12:13]
	v_cndmask_b32_e32 v9, v22, v18, vcc
	v_cndmask_b32_e32 v12, v12, v20, vcc
	;; [unrolled: 1-line block ×3, first 2 shown]
	v_cndmask_b32_e64 v15, v12, v9, s[0:1]
	v_cndmask_b32_e64 v12, v13, v12, s[0:1]
	v_cndmask_b32_e32 v13, v20, v16, vcc
	v_cndmask_b32_e64 v9, v9, v13, s[0:1]
	v_cndmask_b32_e64 v12, v12, v15, s[4:5]
	;; [unrolled: 1-line block ×3, first 2 shown]
	v_sub_u32_e32 v17, 32, v11
	v_alignbit_b32 v19, v12, v15, v17
	v_cmp_eq_u32_e64 s[6:7], 0, v11
	v_cndmask_b32_e32 v8, v16, v8, vcc
	s_nop 0
	v_cndmask_b32_e64 v11, v19, v12, s[6:7]
	v_cndmask_b32_e32 v12, v18, v14, vcc
	v_cndmask_b32_e64 v13, v13, v12, s[0:1]
	v_cndmask_b32_e64 v9, v9, v13, s[4:5]
	v_alignbit_b32 v14, v15, v9, v17
	v_cndmask_b32_e64 v14, v14, v15, s[6:7]
	v_bfe_u32 v19, v11, 29, 1
	v_cndmask_b32_e64 v8, v12, v8, s[0:1]
	v_alignbit_b32 v15, v11, v14, 30
	v_sub_u32_e32 v20, 0, v19
	v_cndmask_b32_e64 v8, v13, v8, s[4:5]
	v_xor_b32_e32 v15, v15, v20
	v_alignbit_b32 v12, v9, v8, v17
	v_cndmask_b32_e64 v9, v12, v9, s[6:7]
	v_ffbh_u32_e32 v13, v15
	v_alignbit_b32 v12, v14, v9, 30
	v_min_u32_e32 v13, 32, v13
	v_alignbit_b32 v8, v9, v8, 30
	v_xor_b32_e32 v12, v12, v20
	v_sub_u32_e32 v14, 31, v13
	v_xor_b32_e32 v8, v8, v20
	v_alignbit_b32 v15, v15, v12, v14
	v_alignbit_b32 v8, v12, v8, v14
	;; [unrolled: 1-line block ×3, first 2 shown]
	v_ffbh_u32_e32 v12, v9
	v_min_u32_e32 v12, 32, v12
	v_lshrrev_b32_e32 v18, 29, v11
	v_not_b32_e32 v14, v12
	v_alignbit_b32 v8, v9, v8, v14
	v_lshlrev_b32_e32 v9, 31, v18
	v_or_b32_e32 v14, 0x33000000, v9
	v_add_lshl_u32 v12, v12, v13, 23
	v_lshrrev_b32_e32 v8, 9, v8
	v_sub_u32_e32 v12, v14, v12
	v_or_b32_e32 v9, 0.5, v9
	v_lshlrev_b32_e32 v13, 23, v13
	v_or_b32_e32 v8, v12, v8
	v_lshrrev_b32_e32 v12, 9, v15
	v_sub_u32_e32 v9, v9, v13
	v_or_b32_e32 v9, v12, v9
	s_mov_b32 s0, 0x3fc90fda
	v_mul_f32_e32 v12, 0x3fc90fda, v9
	v_fma_f32 v13, v9, s0, -v12
	v_fmamk_f32 v9, v9, 0x33a22168, v13
	v_fmac_f32_e32 v9, 0x3fc90fda, v8
	v_lshrrev_b32_e32 v8, 30, v11
	v_add_f32_e32 v9, v12, v9
	v_add_u32_e32 v8, v19, v8
	s_andn2_saveexec_b64 s[0:1], s[18:19]
	s_cbranch_execz .LBB17_14
	s_branch .LBB17_13
.LBB17_10:
	s_and_b64 vcc, exec, s[4:5]
	s_cbranch_vccz .LBB17_68
; %bb.11:
	s_getpc_b64 s[0:1]
	s_add_u32 s0, s0, _ZN2at6native25elementwise_kernel_helperILb0EZZZNS0_12_GLOBAL__N_121bessel_y1_kernel_cudaERNS_18TensorIteratorBaseEENKUlvE_clEvENKUlvE0_clEvEUlfE_NS0_6memory8policies11unroll_baseILi256ESt5arrayIPcLm2EE23TrivialOffsetCalculatorILi1EjESF_NS8_15LoadWithoutCastENS8_16StoreWithoutCastELi4ELi1EEEEEvT0_T1_@rel32@lo+4
	s_addc_u32 s1, s1, _ZN2at6native25elementwise_kernel_helperILb0EZZZNS0_12_GLOBAL__N_121bessel_y1_kernel_cudaERNS_18TensorIteratorBaseEENKUlvE_clEvENKUlvE0_clEvEUlfE_NS0_6memory8policies11unroll_baseILi256ESt5arrayIPcLm2EE23TrivialOffsetCalculatorILi1EjESF_NS8_15LoadWithoutCastENS8_16StoreWithoutCastELi4ELi1EEEEEvT0_T1_@rel32@hi+12
	s_mov_b32 s12, s2
	v_mov_b32_e32 v31, v0
	v_mov_b32_e32 v0, s8
	v_mov_b32_e32 v1, s9
	v_mov_b32_e32 v2, s10
	v_mov_b32_e32 v3, s11
	v_mov_b32_e32 v4, s3
	s_swappc_b64 s[30:31], s[0:1]
	s_endpgm
.LBB17_12:
	s_andn2_saveexec_b64 s[0:1], s[18:19]
	s_cbranch_execz .LBB17_14
.LBB17_13:
	s_mov_b32 s4, 0x3f22f983
	v_mul_f32_e64 v8, |v4|, s4
	v_rndne_f32_e32 v9, v8
	s_mov_b32 s4, 0xbfc90fda
	v_cvt_i32_f32_e32 v8, v9
	v_fma_f32 v11, v9, s4, |v4|
	v_fmamk_f32 v11, v9, 0xb3a22168, v11
	v_fmamk_f32 v9, v9, 0xa7c234c4, v11
.LBB17_14:
	s_or_b64 exec, exec, s[0:1]
                                        ; implicit-def: $vgpr11
                                        ; implicit-def: $vgpr12
	s_and_saveexec_b64 s[0:1], s[16:17]
	s_xor_b64 s[16:17], exec, s[0:1]
	s_cbranch_execz .LBB17_16
; %bb.15:
	v_add_u32_e32 v10, 0xffffff88, v10
	v_not_b32_e32 v11, 63
	v_cmp_lt_u32_e32 vcc, 63, v10
	s_mov_b32 s6, 0xfe5163ab
	v_mov_b32_e32 v13, 0
	v_cndmask_b32_e32 v11, 0, v11, vcc
	v_add_u32_e32 v10, v11, v10
	v_not_b32_e32 v11, 31
	v_cmp_lt_u32_e64 s[0:1], 31, v10
	s_nop 1
	v_cndmask_b32_e64 v12, 0, v11, s[0:1]
	v_add_u32_e32 v10, v12, v10
	v_cmp_lt_u32_e64 s[4:5], 31, v10
	s_nop 1
	v_cndmask_b32_e64 v11, 0, v11, s[4:5]
	v_add_u32_e32 v24, v11, v10
	v_and_b32_e32 v10, 0x7fffff, v5
	v_or_b32_e32 v25, 0x800000, v10
	v_mad_u64_u32 v[10:11], s[6:7], v25, s6, 0
	v_mov_b32_e32 v12, v11
	s_mov_b32 s6, 0x3c439041
	v_mad_u64_u32 v[14:15], s[6:7], v25, s6, v[12:13]
	v_mov_b32_e32 v12, v15
	s_mov_b32 s6, 0xdb629599
	;; [unrolled: 3-line block ×6, first 2 shown]
	v_mad_u64_u32 v[12:13], s[6:7], v25, s6, v[12:13]
	v_cndmask_b32_e32 v11, v22, v18, vcc
	v_cndmask_b32_e32 v12, v12, v20, vcc
	;; [unrolled: 1-line block ×3, first 2 shown]
	v_cndmask_b32_e64 v15, v12, v11, s[0:1]
	v_cndmask_b32_e64 v12, v13, v12, s[0:1]
	v_cndmask_b32_e32 v13, v20, v16, vcc
	v_cndmask_b32_e64 v11, v11, v13, s[0:1]
	v_cndmask_b32_e64 v12, v12, v15, s[4:5]
	;; [unrolled: 1-line block ×3, first 2 shown]
	v_sub_u32_e32 v17, 32, v24
	v_alignbit_b32 v19, v12, v15, v17
	v_cmp_eq_u32_e64 s[6:7], 0, v24
	v_cndmask_b32_e32 v10, v16, v10, vcc
	s_nop 0
	v_cndmask_b32_e64 v19, v19, v12, s[6:7]
	v_cndmask_b32_e32 v12, v18, v14, vcc
	v_cndmask_b32_e64 v13, v13, v12, s[0:1]
	v_cndmask_b32_e64 v11, v11, v13, s[4:5]
	v_alignbit_b32 v14, v15, v11, v17
	v_cndmask_b32_e64 v14, v14, v15, s[6:7]
	v_bfe_u32 v20, v19, 29, 1
	v_cndmask_b32_e64 v10, v12, v10, s[0:1]
	v_alignbit_b32 v15, v19, v14, 30
	v_sub_u32_e32 v21, 0, v20
	v_cndmask_b32_e64 v10, v13, v10, s[4:5]
	v_xor_b32_e32 v15, v15, v21
	v_alignbit_b32 v12, v11, v10, v17
	v_cndmask_b32_e64 v11, v12, v11, s[6:7]
	v_ffbh_u32_e32 v13, v15
	v_alignbit_b32 v12, v14, v11, 30
	v_min_u32_e32 v13, 32, v13
	v_alignbit_b32 v10, v11, v10, 30
	v_xor_b32_e32 v12, v12, v21
	v_sub_u32_e32 v14, 31, v13
	v_xor_b32_e32 v10, v10, v21
	v_alignbit_b32 v15, v15, v12, v14
	v_alignbit_b32 v10, v12, v10, v14
	;; [unrolled: 1-line block ×3, first 2 shown]
	v_ffbh_u32_e32 v12, v11
	v_min_u32_e32 v12, 32, v12
	v_lshrrev_b32_e32 v18, 29, v19
	v_not_b32_e32 v14, v12
	v_alignbit_b32 v10, v11, v10, v14
	v_lshlrev_b32_e32 v11, 31, v18
	v_or_b32_e32 v14, 0x33000000, v11
	v_add_lshl_u32 v12, v12, v13, 23
	v_lshrrev_b32_e32 v10, 9, v10
	v_sub_u32_e32 v12, v14, v12
	v_or_b32_e32 v11, 0.5, v11
	v_lshlrev_b32_e32 v13, 23, v13
	v_or_b32_e32 v10, v12, v10
	v_lshrrev_b32_e32 v12, 9, v15
	v_sub_u32_e32 v11, v11, v13
	v_or_b32_e32 v11, v12, v11
	s_mov_b32 s0, 0x3fc90fda
	v_mul_f32_e32 v12, 0x3fc90fda, v11
	v_fma_f32 v13, v11, s0, -v12
	v_fmamk_f32 v11, v11, 0x33a22168, v13
	v_fmac_f32_e32 v11, 0x3fc90fda, v10
	v_lshrrev_b32_e32 v10, 30, v19
	v_add_f32_e32 v12, v12, v11
	v_add_u32_e32 v11, v20, v10
	s_andn2_saveexec_b64 s[0:1], s[16:17]
	s_cbranch_execnz .LBB17_17
	s_branch .LBB17_18
.LBB17_16:
	s_andn2_saveexec_b64 s[0:1], s[16:17]
	s_cbranch_execz .LBB17_18
.LBB17_17:
	s_mov_b32 s4, 0x3f22f983
	v_mul_f32_e64 v10, |v4|, s4
	v_rndne_f32_e32 v10, v10
	s_mov_b32 s4, 0xbfc90fda
	v_cvt_i32_f32_e32 v11, v10
	v_fma_f32 v12, v10, s4, |v4|
	v_fmamk_f32 v12, v10, 0xb3a22168, v12
	v_fmamk_f32 v12, v10, 0xa7c234c4, v12
.LBB17_18:
	s_or_b64 exec, exec, s[0:1]
	s_mov_b32 s4, 0x40a00000
	v_div_scale_f32 v10, s[0:1], v6, v6, s4
	v_rcp_f32_e32 v13, v10
	v_div_scale_f32 v14, vcc, s4, v6, s4
	v_mov_b32_e32 v17, 0x42947983
	v_fma_f32 v15, -v10, v13, 1.0
	v_fmac_f32_e32 v13, v15, v13
	v_mul_f32_e32 v15, v14, v13
	v_fma_f32 v16, -v10, v15, v14
	v_fmac_f32_e32 v15, v16, v13
	v_fma_f32 v10, -v10, v15, v14
	v_div_fmas_f32 v10, v10, v13, v15
	v_div_fixup_f32 v10, v10, v6, s4
	v_mul_f32_e32 v13, v10, v10
	v_mov_b32_e32 v14, 0x3a47c962
	v_mov_b32_e32 v15, 0x3a15c4d9
	v_fmac_f32_e32 v14, 0, v13
	v_fmac_f32_e32 v15, 0, v13
	v_fmaak_f32 v14, v13, v14, 0x3d95ca45
	v_fmaak_f32 v15, v13, v15, 0x3d8cfeeb
	;; [unrolled: 1-line block ×8, first 2 shown]
	v_mov_b32_e32 v16, 0x3d513fd3
	v_fmaak_f32 v14, v13, v14, 0x40a6dd51
	v_fmaak_f32 v15, v13, v15, 0x40a6b6ea
	v_fmac_f32_e32 v16, 0, v13
	v_fma_f32 v15, v13, v15, 1.0
	v_fmaak_f32 v16, v13, v16, 0x409f6dae
	v_fmac_f32_e32 v17, 0, v13
	v_fma_f32 v14, v13, v14, 1.0
	v_fmaak_f32 v16, v13, v16, 0x4297a5cd
	v_fmaak_f32 v17, v13, v17, 0x44840e5d
	v_div_scale_f32 v18, s[0:1], v15, v15, v14
	v_fmaak_f32 v16, v13, v16, 0x43b763ca
	v_fmaak_f32 v17, v13, v17, 0x459bd349
	v_rcp_f32_e32 v19, v18
	v_fmaak_f32 v16, v13, v16, 0x4431b6ce
	v_fmaak_f32 v17, v13, v17, 0x46156947
	;; [unrolled: 1-line block ×8, first 2 shown]
	v_fma_f32 v17, -v18, v19, 1.0
	v_fmac_f32_e32 v19, v17, v19
	v_div_scale_f32 v17, vcc, v14, v15, v14
	v_mul_f32_e32 v20, v17, v19
	v_fma_f32 v21, -v18, v20, v17
	v_fmac_f32_e32 v20, v21, v19
	v_fma_f32 v17, -v18, v20, v17
	v_div_fmas_f32 v17, v17, v19, v20
	v_div_fixup_f32 v14, v17, v15, v14
	v_mul_f32_e32 v15, v9, v9
	v_mov_b32_e32 v17, 0x3c0881c4
	v_fmamk_f32 v18, v15, 0xb94c1982, v17
	v_fmaak_f32 v18, v15, v18, 0xbe2aaa9d
	v_mul_f32_e32 v18, v15, v18
	v_fmac_f32_e32 v9, v9, v18
	v_mov_b32_e32 v18, 0xbab64f3b
	v_fmamk_f32 v20, v15, 0x37d75334, v18
	v_fmaak_f32 v20, v15, v20, 0x3d2aabf7
	v_fmaak_f32 v20, v15, v20, 0xbf000004
	v_fma_f32 v15, v15, v20, 1.0
	v_and_b32_e32 v20, 1, v8
	v_lshlrev_b32_e32 v8, 30, v8
	v_cmp_eq_u32_e32 vcc, 0, v20
	v_and_b32_e32 v8, 0x80000000, v8
	v_xor_b32_e32 v5, v5, v4
	v_cndmask_b32_e32 v9, v15, v9, vcc
	v_xor_b32_e32 v5, v5, v8
	v_div_scale_f32 v8, s[0:1], v13, v13, v16
	v_xor_b32_e32 v5, v5, v9
	v_rcp_f32_e32 v9, v8
	s_movk_i32 s5, 0x1f8
	v_mov_b32_e32 v15, 0x7fc00000
	v_cmp_class_f32_e64 s[0:1], v4, s5
	v_mov_b32_e32 v19, 0xbe2aaa9d
	v_mov_b32_e32 v21, 0x3d2aabf7
	v_cndmask_b32_e64 v4, v15, v5, s[0:1]
	v_fma_f32 v5, -v8, v9, 1.0
	v_fmac_f32_e32 v9, v5, v9
	v_div_scale_f32 v5, vcc, v16, v13, v16
	v_mul_f32_e32 v20, v5, v9
	v_fma_f32 v23, -v8, v20, v5
	v_fmac_f32_e32 v20, v23, v9
	v_fma_f32 v5, -v8, v20, v5
	v_mul_f32_e32 v8, v12, v12
	v_fmac_f32_e32 v17, 0xb94c1982, v8
	v_fmac_f32_e32 v19, v8, v17
	;; [unrolled: 1-line block ×3, first 2 shown]
	v_mov_b32_e32 v22, 0xbf000004
	v_div_fmas_f32 v5, v5, v9, v20
	v_mul_f32_e32 v9, v8, v19
	v_fmac_f32_e32 v21, v8, v18
	v_fmac_f32_e32 v12, v12, v9
	;; [unrolled: 1-line block ×3, first 2 shown]
	v_and_b32_e32 v9, 1, v11
	v_fma_f32 v8, v8, v22, 1.0
	v_cmp_eq_u32_e32 vcc, 0, v9
	s_brev_b32 s4, 1
	v_lshlrev_b32_e32 v9, 30, v11
	v_cndmask_b32_e64 v8, -v12, v8, vcc
	v_bitop3_b32 v8, v9, v8, s4 bitop3:0x6c
	v_cndmask_b32_e64 v8, v15, v8, s[0:1]
	s_mov_b32 s0, 0xf800000
	v_mul_f32_e32 v9, 0x4f800000, v6
	v_cmp_gt_f32_e32 vcc, s0, v6
	v_div_fixup_f32 v5, v5, v13, v16
	v_mul_f32_e32 v5, v10, v5
	v_cndmask_b32_e32 v6, v6, v9, vcc
	v_sqrt_f32_e32 v9, v6
	v_mul_f32_e32 v5, v5, v8
	v_fmac_f32_e32 v5, v14, v4
	v_mul_f32_e32 v4, 0x3f4c422a, v5
	v_add_u32_e32 v5, -1, v9
	v_fma_f32 v8, -v5, v9, v6
	v_cmp_ge_f32_e64 s[0:1], 0, v8
	v_add_u32_e32 v8, 1, v9
	s_nop 0
	v_cndmask_b32_e64 v5, v9, v5, s[0:1]
	v_fma_f32 v9, -v8, v9, v6
	v_cmp_lt_f32_e64 s[0:1], 0, v9
	s_nop 1
	v_cndmask_b32_e64 v5, v5, v8, s[0:1]
	v_mul_f32_e32 v8, 0x37800000, v5
	v_cndmask_b32_e32 v5, v5, v8, vcc
	v_mov_b32_e32 v8, 0x260
	v_cmp_class_f32_e32 vcc, v6, v8
	s_nop 1
	v_cndmask_b32_e32 v5, v5, v6, vcc
	v_div_scale_f32 v6, s[0:1], v5, v5, v4
	v_rcp_f32_e32 v8, v6
	s_nop 0
	v_fma_f32 v9, -v6, v8, 1.0
	v_fmac_f32_e32 v8, v9, v8
	v_div_scale_f32 v9, vcc, v4, v5, v4
	v_mul_f32_e32 v10, v9, v8
	v_fma_f32 v11, -v6, v10, v9
	v_fmac_f32_e32 v10, v11, v8
	v_fma_f32 v6, -v6, v10, v9
	v_div_fmas_f32 v6, v6, v8, v10
	v_div_fixup_f32 v4, v6, v5, v4
.LBB17_19:
	s_or_b64 exec, exec, s[14:15]
	s_mov_b32 s0, 0x40a00000
	v_cmp_ge_f32_e32 vcc, s0, v7
	s_and_saveexec_b64 s[0:1], vcc
	s_xor_b64 s[4:5], exec, s[0:1]
	s_cbranch_execz .LBB17_25
; %bb.20:
	v_cmp_neq_f32_e32 vcc, 0, v7
	v_mov_b32_e32 v5, 0xff800000
	s_and_saveexec_b64 s[6:7], vcc
	s_cbranch_execz .LBB17_24
; %bb.21:
	v_cmp_nge_f32_e32 vcc, 0, v7
	v_mov_b32_e32 v5, 0x7fc00000
	s_and_saveexec_b64 s[14:15], vcc
	s_cbranch_execz .LBB17_23
; %bb.22:
	v_mul_f32_e32 v6, v7, v7
	v_mov_b32_e32 v5, 0x4414934d
	v_fmac_f32_e32 v5, 0, v6
	v_fmaak_f32 v5, v6, v5, 0x48660b06
	s_mov_b32 s0, 0x4e9695f3
	v_mul_f32_e32 v8, 0, v6
	v_mul_f32_e32 v9, v6, v5
	s_mov_b32 s1, 0x4c8c277d
	v_pk_add_f32 v[10:11], v[8:9], s[0:1]
	s_mov_b32 s0, 0xd316b96b
	s_mov_b32 s1, 0x508bc61d
	v_pk_fma_f32 v[10:11], v[6:7], v[10:11], s[0:1] op_sel_hi:[0,1,1]
	s_mov_b32 s0, 0x56d04aa6
	s_mov_b32 s1, 0x5461faf8
	v_pk_fma_f32 v[10:11], v[6:7], v[10:11], s[0:1] op_sel_hi:[0,1,1]
	;; [unrolled: 3-line block ×5, first 2 shown]
	v_div_scale_f32 v5, s[0:1], v11, v11, v10
	v_rcp_f32_e32 v12, v5
	s_mov_b32 s0, 0xce5691e2
	s_mov_b32 s1, 0x548a37dc
	v_fma_f32 v9, -v5, v12, 1.0
	v_fmac_f32_e32 v12, v9, v12
	v_div_scale_f32 v9, vcc, v10, v11, v10
	v_mul_f32_e32 v13, v9, v12
	v_fma_f32 v14, -v5, v13, v9
	v_fmac_f32_e32 v13, v14, v12
	v_fma_f32 v5, -v5, v13, v9
	v_mov_b32_e32 v9, 0x441b3589
	v_fmac_f32_e32 v9, 0, v6
	v_fmaak_f32 v9, v6, v9, 0x487af6d0
	v_fmaak_f32 v9, v6, v9, 0x4c9f4aa7
	;; [unrolled: 1-line block ×3, first 2 shown]
	v_mul_f32_e32 v9, v6, v9
	v_pk_add_f32 v[8:9], v[8:9], s[0:1]
	s_mov_b32 s0, 0x52d295d0
	s_mov_b32 s1, 0x58325852
	v_pk_fma_f32 v[8:9], v[6:7], v[8:9], s[0:1] op_sel_hi:[0,1,1]
	s_mov_b32 s0, 0xd6845497
	s_mov_b32 s1, 0x5b9f0600
	v_pk_fma_f32 v[8:9], v[6:7], v[8:9], s[0:1] op_sel_hi:[0,1,1]
	;; [unrolled: 3-line block ×3, first 2 shown]
	v_div_scale_f32 v14, s[0:1], v9, v9, v8
	v_rcp_f32_e32 v15, v14
	v_div_fmas_f32 v5, v5, v12, v13
	v_div_fixup_f32 v10, v5, v11, v10
	s_mov_b32 s0, 0xc244dfb3
	v_fma_f32 v5, -v14, v15, 1.0
	v_fmac_f32_e32 v15, v5, v15
	v_div_scale_f32 v5, vcc, v8, v9, v8
	v_mul_f32_e32 v11, v5, v15
	v_fma_f32 v12, -v14, v11, v5
	v_fmac_f32_e32 v11, v12, v15
	v_fma_f32 v5, -v14, v11, v5
	v_div_fmas_f32 v5, v5, v15, v11
	s_mov_b32 s1, 0xc16ae95a
	v_div_fixup_f32 v5, v5, v9, v8
	v_pk_add_f32 v[8:9], v[6:7], s[0:1] op_sel_hi:[0,1]
	s_mov_b32 s0, 0x800000
	v_cmp_gt_f32_e32 vcc, s0, v7
	v_mul_f32_e32 v5, v7, v5
	v_mul_f32_e32 v5, v9, v5
	v_cndmask_b32_e64 v6, 0, 32, vcc
	v_ldexp_f32 v6, v7, v6
	v_log_f32_e32 v6, v6
	v_mul_f32_e32 v5, v8, v5
	s_mov_b32 s0, 0x3f317217
	v_mov_b32_e32 v11, 0x41b17218
	v_mul_f32_e32 v8, 0x3f317217, v6
	v_fma_f32 v8, v6, s0, -v8
	v_fmamk_f32 v8, v6, 0x3377d1cf, v8
	s_mov_b32 s0, 0x7f800000
	v_fmac_f32_e32 v8, 0x3f317217, v6
	v_cmp_lt_f32_e64 s[0:1], |v6|, s0
	v_cndmask_b32_e32 v11, 0, v11, vcc
	s_nop 0
	v_cndmask_b32_e64 v6, v6, v8, s[0:1]
	v_div_scale_f32 v8, s[0:1], v7, v7, -1.0
	v_rcp_f32_e32 v9, v8
	v_sub_f32_e32 v6, v6, v11
	v_fma_f32 v11, -v8, v9, 1.0
	v_fmac_f32_e32 v9, v11, v9
	v_div_scale_f32 v11, vcc, -1.0, v7, -1.0
	v_mul_f32_e32 v12, v11, v9
	v_fma_f32 v13, -v8, v12, v11
	v_fmac_f32_e32 v12, v13, v9
	v_fma_f32 v8, -v8, v12, v11
	v_div_fmas_f32 v8, v8, v9, v12
	v_div_fixup_f32 v8, v8, v7, -1.0
	v_fmac_f32_e32 v8, v6, v5
	v_mul_f32_e32 v5, 0x3f22f983, v8
	v_fmac_f32_e32 v5, v7, v10
.LBB17_23:
	s_or_b64 exec, exec, s[14:15]
.LBB17_24:
	s_or_b64 exec, exec, s[6:7]
                                        ; implicit-def: $vgpr6_vgpr7
.LBB17_25:
	s_andn2_saveexec_b64 s[14:15], s[4:5]
	s_cbranch_execz .LBB17_35
; %bb.26:
	v_add_f32_e32 v5, 0xc016cbe4, v7
	v_and_b32_e32 v6, 0x7fffffff, v5
	s_brev_b32 s0, 18
	v_cmp_nlt_f32_e64 s[16:17], |v5|, s0
	v_lshrrev_b32_e32 v10, 23, v6
                                        ; implicit-def: $vgpr8
                                        ; implicit-def: $vgpr9
	s_and_saveexec_b64 s[0:1], s[16:17]
	s_xor_b64 s[18:19], exec, s[0:1]
	s_cbranch_execz .LBB17_28
; %bb.27:
	v_add_u32_e32 v8, 0xffffff88, v10
	v_not_b32_e32 v9, 63
	v_cmp_lt_u32_e32 vcc, 63, v8
	s_mov_b32 s6, 0xfe5163ab
	v_mov_b32_e32 v13, 0
	v_cndmask_b32_e32 v9, 0, v9, vcc
	v_add_u32_e32 v8, v9, v8
	v_not_b32_e32 v9, 31
	v_cmp_lt_u32_e64 s[0:1], 31, v8
	s_nop 1
	v_cndmask_b32_e64 v11, 0, v9, s[0:1]
	v_add_u32_e32 v8, v11, v8
	v_cmp_lt_u32_e64 s[4:5], 31, v8
	s_nop 1
	v_cndmask_b32_e64 v9, 0, v9, s[4:5]
	v_add_u32_e32 v11, v9, v8
	v_and_b32_e32 v8, 0x7fffff, v6
	v_or_b32_e32 v24, 0x800000, v8
	v_mad_u64_u32 v[8:9], s[6:7], v24, s6, 0
	v_mov_b32_e32 v12, v9
	s_mov_b32 s6, 0x3c439041
	v_mad_u64_u32 v[14:15], s[6:7], v24, s6, v[12:13]
	v_mov_b32_e32 v12, v15
	s_mov_b32 s6, 0xdb629599
	;; [unrolled: 3-line block ×6, first 2 shown]
	v_mad_u64_u32 v[12:13], s[6:7], v24, s6, v[12:13]
	v_cndmask_b32_e32 v9, v22, v18, vcc
	v_cndmask_b32_e32 v12, v12, v20, vcc
	;; [unrolled: 1-line block ×3, first 2 shown]
	v_cndmask_b32_e64 v15, v12, v9, s[0:1]
	v_cndmask_b32_e64 v12, v13, v12, s[0:1]
	v_cndmask_b32_e32 v13, v20, v16, vcc
	v_cndmask_b32_e64 v9, v9, v13, s[0:1]
	v_cndmask_b32_e64 v12, v12, v15, s[4:5]
	;; [unrolled: 1-line block ×3, first 2 shown]
	v_sub_u32_e32 v17, 32, v11
	v_alignbit_b32 v19, v12, v15, v17
	v_cmp_eq_u32_e64 s[6:7], 0, v11
	v_cndmask_b32_e32 v8, v16, v8, vcc
	s_nop 0
	v_cndmask_b32_e64 v11, v19, v12, s[6:7]
	v_cndmask_b32_e32 v12, v18, v14, vcc
	v_cndmask_b32_e64 v13, v13, v12, s[0:1]
	v_cndmask_b32_e64 v9, v9, v13, s[4:5]
	v_alignbit_b32 v14, v15, v9, v17
	v_cndmask_b32_e64 v14, v14, v15, s[6:7]
	v_bfe_u32 v19, v11, 29, 1
	v_cndmask_b32_e64 v8, v12, v8, s[0:1]
	v_alignbit_b32 v15, v11, v14, 30
	v_sub_u32_e32 v20, 0, v19
	v_cndmask_b32_e64 v8, v13, v8, s[4:5]
	v_xor_b32_e32 v15, v15, v20
	v_alignbit_b32 v12, v9, v8, v17
	v_cndmask_b32_e64 v9, v12, v9, s[6:7]
	v_ffbh_u32_e32 v13, v15
	v_alignbit_b32 v12, v14, v9, 30
	v_min_u32_e32 v13, 32, v13
	v_alignbit_b32 v8, v9, v8, 30
	v_xor_b32_e32 v12, v12, v20
	v_sub_u32_e32 v14, 31, v13
	v_xor_b32_e32 v8, v8, v20
	v_alignbit_b32 v15, v15, v12, v14
	v_alignbit_b32 v8, v12, v8, v14
	;; [unrolled: 1-line block ×3, first 2 shown]
	v_ffbh_u32_e32 v12, v9
	v_min_u32_e32 v12, 32, v12
	v_lshrrev_b32_e32 v18, 29, v11
	v_not_b32_e32 v14, v12
	v_alignbit_b32 v8, v9, v8, v14
	v_lshlrev_b32_e32 v9, 31, v18
	v_or_b32_e32 v14, 0x33000000, v9
	v_add_lshl_u32 v12, v12, v13, 23
	v_lshrrev_b32_e32 v8, 9, v8
	v_sub_u32_e32 v12, v14, v12
	v_or_b32_e32 v9, 0.5, v9
	v_lshlrev_b32_e32 v13, 23, v13
	v_or_b32_e32 v8, v12, v8
	v_lshrrev_b32_e32 v12, 9, v15
	v_sub_u32_e32 v9, v9, v13
	v_or_b32_e32 v9, v12, v9
	s_mov_b32 s0, 0x3fc90fda
	v_mul_f32_e32 v12, 0x3fc90fda, v9
	v_fma_f32 v13, v9, s0, -v12
	v_fmamk_f32 v9, v9, 0x33a22168, v13
	v_fmac_f32_e32 v9, 0x3fc90fda, v8
	v_lshrrev_b32_e32 v8, 30, v11
	v_add_f32_e32 v9, v12, v9
	v_add_u32_e32 v8, v19, v8
	s_andn2_saveexec_b64 s[0:1], s[18:19]
	s_cbranch_execz .LBB17_30
	s_branch .LBB17_29
.LBB17_28:
	s_andn2_saveexec_b64 s[0:1], s[18:19]
	s_cbranch_execz .LBB17_30
.LBB17_29:
	s_mov_b32 s4, 0x3f22f983
	v_mul_f32_e64 v8, |v5|, s4
	v_rndne_f32_e32 v9, v8
	s_mov_b32 s4, 0xbfc90fda
	v_cvt_i32_f32_e32 v8, v9
	v_fma_f32 v11, v9, s4, |v5|
	v_fmamk_f32 v11, v9, 0xb3a22168, v11
	v_fmamk_f32 v9, v9, 0xa7c234c4, v11
.LBB17_30:
	s_or_b64 exec, exec, s[0:1]
                                        ; implicit-def: $vgpr11
                                        ; implicit-def: $vgpr12
	s_and_saveexec_b64 s[0:1], s[16:17]
	s_xor_b64 s[16:17], exec, s[0:1]
	s_cbranch_execz .LBB17_32
; %bb.31:
	v_add_u32_e32 v10, 0xffffff88, v10
	v_not_b32_e32 v11, 63
	v_cmp_lt_u32_e32 vcc, 63, v10
	s_mov_b32 s6, 0xfe5163ab
	v_mov_b32_e32 v13, 0
	v_cndmask_b32_e32 v11, 0, v11, vcc
	v_add_u32_e32 v10, v11, v10
	v_not_b32_e32 v11, 31
	v_cmp_lt_u32_e64 s[0:1], 31, v10
	s_nop 1
	v_cndmask_b32_e64 v12, 0, v11, s[0:1]
	v_add_u32_e32 v10, v12, v10
	v_cmp_lt_u32_e64 s[4:5], 31, v10
	s_nop 1
	v_cndmask_b32_e64 v11, 0, v11, s[4:5]
	v_add_u32_e32 v24, v11, v10
	v_and_b32_e32 v10, 0x7fffff, v6
	v_or_b32_e32 v25, 0x800000, v10
	v_mad_u64_u32 v[10:11], s[6:7], v25, s6, 0
	v_mov_b32_e32 v12, v11
	s_mov_b32 s6, 0x3c439041
	v_mad_u64_u32 v[14:15], s[6:7], v25, s6, v[12:13]
	v_mov_b32_e32 v12, v15
	s_mov_b32 s6, 0xdb629599
	;; [unrolled: 3-line block ×6, first 2 shown]
	v_mad_u64_u32 v[12:13], s[6:7], v25, s6, v[12:13]
	v_cndmask_b32_e32 v11, v22, v18, vcc
	v_cndmask_b32_e32 v12, v12, v20, vcc
	;; [unrolled: 1-line block ×3, first 2 shown]
	v_cndmask_b32_e64 v15, v12, v11, s[0:1]
	v_cndmask_b32_e64 v12, v13, v12, s[0:1]
	v_cndmask_b32_e32 v13, v20, v16, vcc
	v_cndmask_b32_e64 v11, v11, v13, s[0:1]
	v_cndmask_b32_e64 v12, v12, v15, s[4:5]
	v_cndmask_b32_e64 v15, v15, v11, s[4:5]
	v_sub_u32_e32 v17, 32, v24
	v_alignbit_b32 v19, v12, v15, v17
	v_cmp_eq_u32_e64 s[6:7], 0, v24
	v_cndmask_b32_e32 v10, v16, v10, vcc
	s_nop 0
	v_cndmask_b32_e64 v19, v19, v12, s[6:7]
	v_cndmask_b32_e32 v12, v18, v14, vcc
	v_cndmask_b32_e64 v13, v13, v12, s[0:1]
	v_cndmask_b32_e64 v11, v11, v13, s[4:5]
	v_alignbit_b32 v14, v15, v11, v17
	v_cndmask_b32_e64 v14, v14, v15, s[6:7]
	v_bfe_u32 v20, v19, 29, 1
	v_cndmask_b32_e64 v10, v12, v10, s[0:1]
	v_alignbit_b32 v15, v19, v14, 30
	v_sub_u32_e32 v21, 0, v20
	v_cndmask_b32_e64 v10, v13, v10, s[4:5]
	v_xor_b32_e32 v15, v15, v21
	v_alignbit_b32 v12, v11, v10, v17
	v_cndmask_b32_e64 v11, v12, v11, s[6:7]
	v_ffbh_u32_e32 v13, v15
	v_alignbit_b32 v12, v14, v11, 30
	v_min_u32_e32 v13, 32, v13
	v_alignbit_b32 v10, v11, v10, 30
	v_xor_b32_e32 v12, v12, v21
	v_sub_u32_e32 v14, 31, v13
	v_xor_b32_e32 v10, v10, v21
	v_alignbit_b32 v15, v15, v12, v14
	v_alignbit_b32 v10, v12, v10, v14
	;; [unrolled: 1-line block ×3, first 2 shown]
	v_ffbh_u32_e32 v12, v11
	v_min_u32_e32 v12, 32, v12
	v_lshrrev_b32_e32 v18, 29, v19
	v_not_b32_e32 v14, v12
	v_alignbit_b32 v10, v11, v10, v14
	v_lshlrev_b32_e32 v11, 31, v18
	v_or_b32_e32 v14, 0x33000000, v11
	v_add_lshl_u32 v12, v12, v13, 23
	v_lshrrev_b32_e32 v10, 9, v10
	v_sub_u32_e32 v12, v14, v12
	v_or_b32_e32 v11, 0.5, v11
	v_lshlrev_b32_e32 v13, 23, v13
	v_or_b32_e32 v10, v12, v10
	v_lshrrev_b32_e32 v12, 9, v15
	v_sub_u32_e32 v11, v11, v13
	v_or_b32_e32 v11, v12, v11
	s_mov_b32 s0, 0x3fc90fda
	v_mul_f32_e32 v12, 0x3fc90fda, v11
	v_fma_f32 v13, v11, s0, -v12
	v_fmamk_f32 v11, v11, 0x33a22168, v13
	v_fmac_f32_e32 v11, 0x3fc90fda, v10
	v_lshrrev_b32_e32 v10, 30, v19
	v_add_f32_e32 v12, v12, v11
	v_add_u32_e32 v11, v20, v10
	s_andn2_saveexec_b64 s[0:1], s[16:17]
	s_cbranch_execnz .LBB17_33
	s_branch .LBB17_34
.LBB17_32:
	s_andn2_saveexec_b64 s[0:1], s[16:17]
	s_cbranch_execz .LBB17_34
.LBB17_33:
	s_mov_b32 s4, 0x3f22f983
	v_mul_f32_e64 v10, |v5|, s4
	v_rndne_f32_e32 v10, v10
	s_mov_b32 s4, 0xbfc90fda
	v_cvt_i32_f32_e32 v11, v10
	v_fma_f32 v12, v10, s4, |v5|
	v_fmamk_f32 v12, v10, 0xb3a22168, v12
	v_fmamk_f32 v12, v10, 0xa7c234c4, v12
.LBB17_34:
	s_or_b64 exec, exec, s[0:1]
	s_mov_b32 s4, 0x40a00000
	v_div_scale_f32 v10, s[0:1], v7, v7, s4
	v_rcp_f32_e32 v13, v10
	v_div_scale_f32 v14, vcc, s4, v7, s4
	v_mov_b32_e32 v17, 0x42947983
	v_fma_f32 v15, -v10, v13, 1.0
	v_fmac_f32_e32 v13, v15, v13
	v_mul_f32_e32 v15, v14, v13
	v_fma_f32 v16, -v10, v15, v14
	v_fmac_f32_e32 v15, v16, v13
	v_fma_f32 v10, -v10, v15, v14
	v_div_fmas_f32 v10, v10, v13, v15
	v_div_fixup_f32 v10, v10, v7, s4
	v_mul_f32_e32 v13, v10, v10
	v_mov_b32_e32 v14, 0x3a47c962
	v_mov_b32_e32 v15, 0x3a15c4d9
	v_fmac_f32_e32 v14, 0, v13
	v_fmac_f32_e32 v15, 0, v13
	v_fmaak_f32 v14, v13, v14, 0x3d95ca45
	v_fmaak_f32 v15, v13, v15, 0x3d8cfeeb
	;; [unrolled: 1-line block ×8, first 2 shown]
	v_mov_b32_e32 v16, 0x3d513fd3
	v_fmaak_f32 v14, v13, v14, 0x40a6dd51
	v_fmaak_f32 v15, v13, v15, 0x40a6b6ea
	v_fmac_f32_e32 v16, 0, v13
	v_fma_f32 v15, v13, v15, 1.0
	v_fmaak_f32 v16, v13, v16, 0x409f6dae
	v_fmac_f32_e32 v17, 0, v13
	v_fma_f32 v14, v13, v14, 1.0
	v_fmaak_f32 v16, v13, v16, 0x4297a5cd
	v_fmaak_f32 v17, v13, v17, 0x44840e5d
	v_div_scale_f32 v18, s[0:1], v15, v15, v14
	v_fmaak_f32 v16, v13, v16, 0x43b763ca
	v_fmaak_f32 v17, v13, v17, 0x459bd349
	v_rcp_f32_e32 v19, v18
	v_fmaak_f32 v16, v13, v16, 0x4431b6ce
	v_fmaak_f32 v17, v13, v17, 0x46156947
	;; [unrolled: 1-line block ×8, first 2 shown]
	v_fma_f32 v17, -v18, v19, 1.0
	v_fmac_f32_e32 v19, v17, v19
	v_div_scale_f32 v17, vcc, v14, v15, v14
	v_mul_f32_e32 v20, v17, v19
	v_fma_f32 v21, -v18, v20, v17
	v_fmac_f32_e32 v20, v21, v19
	v_fma_f32 v17, -v18, v20, v17
	v_div_fmas_f32 v17, v17, v19, v20
	v_div_fixup_f32 v14, v17, v15, v14
	v_mul_f32_e32 v15, v9, v9
	v_mov_b32_e32 v17, 0x3c0881c4
	v_fmamk_f32 v18, v15, 0xb94c1982, v17
	v_fmaak_f32 v18, v15, v18, 0xbe2aaa9d
	v_mul_f32_e32 v18, v15, v18
	v_fmac_f32_e32 v9, v9, v18
	v_mov_b32_e32 v18, 0xbab64f3b
	v_fmamk_f32 v20, v15, 0x37d75334, v18
	v_fmaak_f32 v20, v15, v20, 0x3d2aabf7
	v_fmaak_f32 v20, v15, v20, 0xbf000004
	v_fma_f32 v15, v15, v20, 1.0
	v_and_b32_e32 v20, 1, v8
	v_lshlrev_b32_e32 v8, 30, v8
	v_cmp_eq_u32_e32 vcc, 0, v20
	v_and_b32_e32 v8, 0x80000000, v8
	v_xor_b32_e32 v6, v6, v5
	v_cndmask_b32_e32 v9, v15, v9, vcc
	v_xor_b32_e32 v6, v6, v8
	v_div_scale_f32 v8, s[0:1], v13, v13, v16
	v_xor_b32_e32 v6, v6, v9
	v_rcp_f32_e32 v9, v8
	s_movk_i32 s5, 0x1f8
	v_mov_b32_e32 v15, 0x7fc00000
	v_cmp_class_f32_e64 s[0:1], v5, s5
	v_mov_b32_e32 v19, 0xbe2aaa9d
	v_mov_b32_e32 v21, 0x3d2aabf7
	v_cndmask_b32_e64 v5, v15, v6, s[0:1]
	v_fma_f32 v6, -v8, v9, 1.0
	v_fmac_f32_e32 v9, v6, v9
	v_div_scale_f32 v6, vcc, v16, v13, v16
	v_mul_f32_e32 v20, v6, v9
	v_fma_f32 v23, -v8, v20, v6
	v_fmac_f32_e32 v20, v23, v9
	v_fma_f32 v6, -v8, v20, v6
	v_mul_f32_e32 v8, v12, v12
	v_fmac_f32_e32 v17, 0xb94c1982, v8
	v_fmac_f32_e32 v19, v8, v17
	;; [unrolled: 1-line block ×3, first 2 shown]
	v_mov_b32_e32 v22, 0xbf000004
	v_div_fmas_f32 v6, v6, v9, v20
	v_mul_f32_e32 v9, v8, v19
	v_fmac_f32_e32 v21, v8, v18
	v_fmac_f32_e32 v12, v12, v9
	;; [unrolled: 1-line block ×3, first 2 shown]
	v_and_b32_e32 v9, 1, v11
	v_fma_f32 v8, v8, v22, 1.0
	v_cmp_eq_u32_e32 vcc, 0, v9
	s_brev_b32 s4, 1
	v_lshlrev_b32_e32 v9, 30, v11
	v_cndmask_b32_e64 v8, -v12, v8, vcc
	v_bitop3_b32 v8, v9, v8, s4 bitop3:0x6c
	v_cndmask_b32_e64 v8, v15, v8, s[0:1]
	s_mov_b32 s0, 0xf800000
	v_mul_f32_e32 v9, 0x4f800000, v7
	v_cmp_gt_f32_e32 vcc, s0, v7
	v_div_fixup_f32 v6, v6, v13, v16
	v_mul_f32_e32 v6, v10, v6
	v_cndmask_b32_e32 v7, v7, v9, vcc
	v_sqrt_f32_e32 v9, v7
	v_mul_f32_e32 v6, v6, v8
	v_fmac_f32_e32 v6, v14, v5
	v_mul_f32_e32 v5, 0x3f4c422a, v6
	v_add_u32_e32 v6, -1, v9
	v_fma_f32 v8, -v6, v9, v7
	v_cmp_ge_f32_e64 s[0:1], 0, v8
	v_add_u32_e32 v8, 1, v9
	s_nop 0
	v_cndmask_b32_e64 v6, v9, v6, s[0:1]
	v_fma_f32 v9, -v8, v9, v7
	v_cmp_lt_f32_e64 s[0:1], 0, v9
	s_nop 1
	v_cndmask_b32_e64 v6, v6, v8, s[0:1]
	v_mul_f32_e32 v8, 0x37800000, v6
	v_cndmask_b32_e32 v6, v6, v8, vcc
	v_mov_b32_e32 v8, 0x260
	v_cmp_class_f32_e32 vcc, v7, v8
	s_nop 1
	v_cndmask_b32_e32 v6, v6, v7, vcc
	v_div_scale_f32 v7, s[0:1], v6, v6, v5
	v_rcp_f32_e32 v8, v7
	s_nop 0
	v_fma_f32 v9, -v7, v8, 1.0
	v_fmac_f32_e32 v8, v9, v8
	v_div_scale_f32 v9, vcc, v5, v6, v5
	v_mul_f32_e32 v10, v9, v8
	v_fma_f32 v11, -v7, v10, v9
	v_fmac_f32_e32 v10, v11, v8
	v_fma_f32 v7, -v7, v10, v9
	v_div_fmas_f32 v7, v7, v8, v10
	v_div_fixup_f32 v5, v7, v6, v5
.LBB17_35:
	s_or_b64 exec, exec, s[14:15]
	s_mov_b32 s0, 0x40a00000
	s_waitcnt vmcnt(0)
	v_cmp_ge_f32_e32 vcc, s0, v2
                                        ; implicit-def: $vgpr6
	s_and_saveexec_b64 s[0:1], vcc
	s_xor_b64 s[4:5], exec, s[0:1]
	s_cbranch_execz .LBB17_41
; %bb.36:
	v_cmp_neq_f32_e32 vcc, 0, v2
	v_mov_b32_e32 v6, 0xff800000
	s_and_saveexec_b64 s[6:7], vcc
	s_cbranch_execz .LBB17_40
; %bb.37:
	v_cmp_nge_f32_e32 vcc, 0, v2
	v_mov_b32_e32 v6, 0x7fc00000
	s_and_saveexec_b64 s[14:15], vcc
	s_cbranch_execz .LBB17_39
; %bb.38:
	v_mul_f32_e32 v6, v2, v2
	v_mov_b32_e32 v7, 0x4414934d
	v_fmac_f32_e32 v7, 0, v6
	v_fmaak_f32 v7, v6, v7, 0x48660b06
	s_mov_b32 s0, 0x4e9695f3
	v_mul_f32_e32 v8, 0, v6
	v_mul_f32_e32 v9, v6, v7
	s_mov_b32 s1, 0x4c8c277d
	v_pk_add_f32 v[10:11], v[8:9], s[0:1]
	s_mov_b32 s0, 0xd316b96b
	s_mov_b32 s1, 0x508bc61d
	v_pk_fma_f32 v[10:11], v[6:7], v[10:11], s[0:1] op_sel_hi:[0,1,1]
	s_mov_b32 s0, 0x56d04aa6
	s_mov_b32 s1, 0x5461faf8
	v_pk_fma_f32 v[10:11], v[6:7], v[10:11], s[0:1] op_sel_hi:[0,1,1]
	;; [unrolled: 3-line block ×5, first 2 shown]
	v_div_scale_f32 v7, s[0:1], v11, v11, v10
	v_rcp_f32_e32 v12, v7
	s_mov_b32 s0, 0xce5691e2
	s_mov_b32 s1, 0x548a37dc
	v_fma_f32 v9, -v7, v12, 1.0
	v_fmac_f32_e32 v12, v9, v12
	v_div_scale_f32 v9, vcc, v10, v11, v10
	v_mul_f32_e32 v13, v9, v12
	v_fma_f32 v14, -v7, v13, v9
	v_fmac_f32_e32 v13, v14, v12
	v_fma_f32 v7, -v7, v13, v9
	v_mov_b32_e32 v9, 0x441b3589
	v_fmac_f32_e32 v9, 0, v6
	v_fmaak_f32 v9, v6, v9, 0x487af6d0
	v_fmaak_f32 v9, v6, v9, 0x4c9f4aa7
	;; [unrolled: 1-line block ×3, first 2 shown]
	v_mul_f32_e32 v9, v6, v9
	v_pk_add_f32 v[8:9], v[8:9], s[0:1]
	s_mov_b32 s0, 0x52d295d0
	s_mov_b32 s1, 0x58325852
	v_pk_fma_f32 v[8:9], v[6:7], v[8:9], s[0:1] op_sel_hi:[0,1,1]
	s_mov_b32 s0, 0xd6845497
	s_mov_b32 s1, 0x5b9f0600
	v_pk_fma_f32 v[8:9], v[6:7], v[8:9], s[0:1] op_sel_hi:[0,1,1]
	s_mov_b32 s0, 0x59515a15
	s_mov_b32 s1, 0x5e93bcac
	v_pk_fma_f32 v[8:9], v[6:7], v[8:9], s[0:1] op_sel_hi:[0,1,1]
	v_div_scale_f32 v14, s[0:1], v9, v9, v8
	v_rcp_f32_e32 v15, v14
	v_div_fmas_f32 v7, v7, v12, v13
	v_div_fixup_f32 v10, v7, v11, v10
	s_mov_b32 s0, 0xc244dfb3
	v_fma_f32 v7, -v14, v15, 1.0
	v_fmac_f32_e32 v15, v7, v15
	v_div_scale_f32 v7, vcc, v8, v9, v8
	v_mul_f32_e32 v11, v7, v15
	v_fma_f32 v12, -v14, v11, v7
	v_fmac_f32_e32 v11, v12, v15
	v_fma_f32 v7, -v14, v11, v7
	v_div_fmas_f32 v7, v7, v15, v11
	v_div_fixup_f32 v7, v7, v9, v8
	s_mov_b32 s1, 0xc16ae95a
	v_mul_f32_e32 v8, v2, v7
	v_pk_add_f32 v[6:7], v[6:7], s[0:1] op_sel_hi:[0,1]
	s_mov_b32 s0, 0x800000
	v_cmp_gt_f32_e32 vcc, s0, v2
	v_mul_f32_e32 v7, v7, v8
	v_mul_f32_e32 v6, v6, v7
	v_cndmask_b32_e64 v9, 0, 32, vcc
	v_ldexp_f32 v9, v2, v9
	v_log_f32_e32 v9, v9
	s_mov_b32 s0, 0x3f317217
	v_mov_b32_e32 v11, 0x41b17218
	v_cndmask_b32_e32 v11, 0, v11, vcc
	v_mul_f32_e32 v7, 0x3f317217, v9
	v_fma_f32 v7, v9, s0, -v7
	v_fmamk_f32 v7, v9, 0x3377d1cf, v7
	s_mov_b32 s0, 0x7f800000
	v_fmac_f32_e32 v7, 0x3f317217, v9
	v_cmp_lt_f32_e64 s[0:1], |v9|, s0
	s_nop 1
	v_cndmask_b32_e64 v7, v9, v7, s[0:1]
	v_div_scale_f32 v8, s[0:1], v2, v2, -1.0
	v_rcp_f32_e32 v9, v8
	v_sub_f32_e32 v7, v7, v11
	v_fma_f32 v11, -v8, v9, 1.0
	v_fmac_f32_e32 v9, v11, v9
	v_div_scale_f32 v11, vcc, -1.0, v2, -1.0
	v_mul_f32_e32 v12, v11, v9
	v_fma_f32 v13, -v8, v12, v11
	v_fmac_f32_e32 v12, v13, v9
	v_fma_f32 v8, -v8, v12, v11
	v_div_fmas_f32 v8, v8, v9, v12
	v_div_fixup_f32 v8, v8, v2, -1.0
	v_fmac_f32_e32 v8, v7, v6
	v_mul_f32_e32 v6, 0x3f22f983, v8
	v_fmac_f32_e32 v6, v2, v10
.LBB17_39:
	s_or_b64 exec, exec, s[14:15]
.LBB17_40:
	s_or_b64 exec, exec, s[6:7]
.LBB17_41:
	s_andn2_saveexec_b64 s[14:15], s[4:5]
	s_cbranch_execz .LBB17_51
; %bb.42:
	v_add_f32_e32 v6, 0xc016cbe4, v2
	v_and_b32_e32 v7, 0x7fffffff, v6
	s_brev_b32 s0, 18
	v_cmp_nlt_f32_e64 s[16:17], |v6|, s0
	v_lshrrev_b32_e32 v10, 23, v7
                                        ; implicit-def: $vgpr8
                                        ; implicit-def: $vgpr9
	s_and_saveexec_b64 s[0:1], s[16:17]
	s_xor_b64 s[18:19], exec, s[0:1]
	s_cbranch_execz .LBB17_44
; %bb.43:
	v_add_u32_e32 v8, 0xffffff88, v10
	v_not_b32_e32 v9, 63
	v_cmp_lt_u32_e32 vcc, 63, v8
	s_mov_b32 s6, 0xfe5163ab
	v_mov_b32_e32 v13, 0
	v_cndmask_b32_e32 v9, 0, v9, vcc
	v_add_u32_e32 v8, v9, v8
	v_not_b32_e32 v9, 31
	v_cmp_lt_u32_e64 s[0:1], 31, v8
	s_nop 1
	v_cndmask_b32_e64 v11, 0, v9, s[0:1]
	v_add_u32_e32 v8, v11, v8
	v_cmp_lt_u32_e64 s[4:5], 31, v8
	s_nop 1
	v_cndmask_b32_e64 v9, 0, v9, s[4:5]
	v_add_u32_e32 v11, v9, v8
	v_and_b32_e32 v8, 0x7fffff, v7
	v_or_b32_e32 v24, 0x800000, v8
	v_mad_u64_u32 v[8:9], s[6:7], v24, s6, 0
	v_mov_b32_e32 v12, v9
	s_mov_b32 s6, 0x3c439041
	v_mad_u64_u32 v[14:15], s[6:7], v24, s6, v[12:13]
	v_mov_b32_e32 v12, v15
	s_mov_b32 s6, 0xdb629599
	v_mad_u64_u32 v[16:17], s[6:7], v24, s6, v[12:13]
	v_mov_b32_e32 v12, v17
	s_mov_b32 s6, 0xf534ddc0
	v_mad_u64_u32 v[18:19], s[6:7], v24, s6, v[12:13]
	v_mov_b32_e32 v12, v19
	s_mov_b32 s6, 0xfc2757d1
	v_mad_u64_u32 v[20:21], s[6:7], v24, s6, v[12:13]
	v_mov_b32_e32 v12, v21
	s_mov_b32 s6, 0x4e441529
	v_mad_u64_u32 v[22:23], s[6:7], v24, s6, v[12:13]
	v_mov_b32_e32 v12, v23
	s_mov_b32 s6, 0xa2f9836e
	v_mad_u64_u32 v[12:13], s[6:7], v24, s6, v[12:13]
	v_cndmask_b32_e32 v9, v22, v18, vcc
	v_cndmask_b32_e32 v12, v12, v20, vcc
	;; [unrolled: 1-line block ×3, first 2 shown]
	v_cndmask_b32_e64 v15, v12, v9, s[0:1]
	v_cndmask_b32_e64 v12, v13, v12, s[0:1]
	v_cndmask_b32_e32 v13, v20, v16, vcc
	v_cndmask_b32_e64 v9, v9, v13, s[0:1]
	v_cndmask_b32_e64 v12, v12, v15, s[4:5]
	;; [unrolled: 1-line block ×3, first 2 shown]
	v_sub_u32_e32 v17, 32, v11
	v_alignbit_b32 v19, v12, v15, v17
	v_cmp_eq_u32_e64 s[6:7], 0, v11
	v_cndmask_b32_e32 v8, v16, v8, vcc
	s_nop 0
	v_cndmask_b32_e64 v11, v19, v12, s[6:7]
	v_cndmask_b32_e32 v12, v18, v14, vcc
	v_cndmask_b32_e64 v13, v13, v12, s[0:1]
	v_cndmask_b32_e64 v9, v9, v13, s[4:5]
	v_alignbit_b32 v14, v15, v9, v17
	v_cndmask_b32_e64 v14, v14, v15, s[6:7]
	v_bfe_u32 v19, v11, 29, 1
	v_cndmask_b32_e64 v8, v12, v8, s[0:1]
	v_alignbit_b32 v15, v11, v14, 30
	v_sub_u32_e32 v20, 0, v19
	v_cndmask_b32_e64 v8, v13, v8, s[4:5]
	v_xor_b32_e32 v15, v15, v20
	v_alignbit_b32 v12, v9, v8, v17
	v_cndmask_b32_e64 v9, v12, v9, s[6:7]
	v_ffbh_u32_e32 v13, v15
	v_alignbit_b32 v12, v14, v9, 30
	v_min_u32_e32 v13, 32, v13
	v_alignbit_b32 v8, v9, v8, 30
	v_xor_b32_e32 v12, v12, v20
	v_sub_u32_e32 v14, 31, v13
	v_xor_b32_e32 v8, v8, v20
	v_alignbit_b32 v15, v15, v12, v14
	v_alignbit_b32 v8, v12, v8, v14
	;; [unrolled: 1-line block ×3, first 2 shown]
	v_ffbh_u32_e32 v12, v9
	v_min_u32_e32 v12, 32, v12
	v_lshrrev_b32_e32 v18, 29, v11
	v_not_b32_e32 v14, v12
	v_alignbit_b32 v8, v9, v8, v14
	v_lshlrev_b32_e32 v9, 31, v18
	v_or_b32_e32 v14, 0x33000000, v9
	v_add_lshl_u32 v12, v12, v13, 23
	v_lshrrev_b32_e32 v8, 9, v8
	v_sub_u32_e32 v12, v14, v12
	v_or_b32_e32 v9, 0.5, v9
	v_lshlrev_b32_e32 v13, 23, v13
	v_or_b32_e32 v8, v12, v8
	v_lshrrev_b32_e32 v12, 9, v15
	v_sub_u32_e32 v9, v9, v13
	v_or_b32_e32 v9, v12, v9
	s_mov_b32 s0, 0x3fc90fda
	v_mul_f32_e32 v12, 0x3fc90fda, v9
	v_fma_f32 v13, v9, s0, -v12
	v_fmamk_f32 v9, v9, 0x33a22168, v13
	v_fmac_f32_e32 v9, 0x3fc90fda, v8
	v_lshrrev_b32_e32 v8, 30, v11
	v_add_f32_e32 v9, v12, v9
	v_add_u32_e32 v8, v19, v8
	s_andn2_saveexec_b64 s[0:1], s[18:19]
	s_cbranch_execz .LBB17_46
	s_branch .LBB17_45
.LBB17_44:
	s_andn2_saveexec_b64 s[0:1], s[18:19]
	s_cbranch_execz .LBB17_46
.LBB17_45:
	s_mov_b32 s4, 0x3f22f983
	v_mul_f32_e64 v8, |v6|, s4
	v_rndne_f32_e32 v9, v8
	s_mov_b32 s4, 0xbfc90fda
	v_cvt_i32_f32_e32 v8, v9
	v_fma_f32 v11, v9, s4, |v6|
	v_fmamk_f32 v11, v9, 0xb3a22168, v11
	v_fmamk_f32 v9, v9, 0xa7c234c4, v11
.LBB17_46:
	s_or_b64 exec, exec, s[0:1]
                                        ; implicit-def: $vgpr11
                                        ; implicit-def: $vgpr12
	s_and_saveexec_b64 s[0:1], s[16:17]
	s_xor_b64 s[16:17], exec, s[0:1]
	s_cbranch_execz .LBB17_48
; %bb.47:
	v_add_u32_e32 v10, 0xffffff88, v10
	v_not_b32_e32 v11, 63
	v_cmp_lt_u32_e32 vcc, 63, v10
	s_mov_b32 s6, 0xfe5163ab
	v_mov_b32_e32 v13, 0
	v_cndmask_b32_e32 v11, 0, v11, vcc
	v_add_u32_e32 v10, v11, v10
	v_not_b32_e32 v11, 31
	v_cmp_lt_u32_e64 s[0:1], 31, v10
	s_nop 1
	v_cndmask_b32_e64 v12, 0, v11, s[0:1]
	v_add_u32_e32 v10, v12, v10
	v_cmp_lt_u32_e64 s[4:5], 31, v10
	s_nop 1
	v_cndmask_b32_e64 v11, 0, v11, s[4:5]
	v_add_u32_e32 v24, v11, v10
	v_and_b32_e32 v10, 0x7fffff, v7
	v_or_b32_e32 v25, 0x800000, v10
	v_mad_u64_u32 v[10:11], s[6:7], v25, s6, 0
	v_mov_b32_e32 v12, v11
	s_mov_b32 s6, 0x3c439041
	v_mad_u64_u32 v[14:15], s[6:7], v25, s6, v[12:13]
	v_mov_b32_e32 v12, v15
	s_mov_b32 s6, 0xdb629599
	;; [unrolled: 3-line block ×6, first 2 shown]
	v_mad_u64_u32 v[12:13], s[6:7], v25, s6, v[12:13]
	v_cndmask_b32_e32 v11, v22, v18, vcc
	v_cndmask_b32_e32 v12, v12, v20, vcc
	;; [unrolled: 1-line block ×3, first 2 shown]
	v_cndmask_b32_e64 v15, v12, v11, s[0:1]
	v_cndmask_b32_e64 v12, v13, v12, s[0:1]
	v_cndmask_b32_e32 v13, v20, v16, vcc
	v_cndmask_b32_e64 v11, v11, v13, s[0:1]
	v_cndmask_b32_e64 v12, v12, v15, s[4:5]
	;; [unrolled: 1-line block ×3, first 2 shown]
	v_sub_u32_e32 v17, 32, v24
	v_alignbit_b32 v19, v12, v15, v17
	v_cmp_eq_u32_e64 s[6:7], 0, v24
	v_cndmask_b32_e32 v10, v16, v10, vcc
	s_nop 0
	v_cndmask_b32_e64 v19, v19, v12, s[6:7]
	v_cndmask_b32_e32 v12, v18, v14, vcc
	v_cndmask_b32_e64 v13, v13, v12, s[0:1]
	v_cndmask_b32_e64 v11, v11, v13, s[4:5]
	v_alignbit_b32 v14, v15, v11, v17
	v_cndmask_b32_e64 v14, v14, v15, s[6:7]
	v_bfe_u32 v20, v19, 29, 1
	v_cndmask_b32_e64 v10, v12, v10, s[0:1]
	v_alignbit_b32 v15, v19, v14, 30
	v_sub_u32_e32 v21, 0, v20
	v_cndmask_b32_e64 v10, v13, v10, s[4:5]
	v_xor_b32_e32 v15, v15, v21
	v_alignbit_b32 v12, v11, v10, v17
	v_cndmask_b32_e64 v11, v12, v11, s[6:7]
	v_ffbh_u32_e32 v13, v15
	v_alignbit_b32 v12, v14, v11, 30
	v_min_u32_e32 v13, 32, v13
	v_alignbit_b32 v10, v11, v10, 30
	v_xor_b32_e32 v12, v12, v21
	v_sub_u32_e32 v14, 31, v13
	v_xor_b32_e32 v10, v10, v21
	v_alignbit_b32 v15, v15, v12, v14
	v_alignbit_b32 v10, v12, v10, v14
	;; [unrolled: 1-line block ×3, first 2 shown]
	v_ffbh_u32_e32 v12, v11
	v_min_u32_e32 v12, 32, v12
	v_lshrrev_b32_e32 v18, 29, v19
	v_not_b32_e32 v14, v12
	v_alignbit_b32 v10, v11, v10, v14
	v_lshlrev_b32_e32 v11, 31, v18
	v_or_b32_e32 v14, 0x33000000, v11
	v_add_lshl_u32 v12, v12, v13, 23
	v_lshrrev_b32_e32 v10, 9, v10
	v_sub_u32_e32 v12, v14, v12
	v_or_b32_e32 v11, 0.5, v11
	v_lshlrev_b32_e32 v13, 23, v13
	v_or_b32_e32 v10, v12, v10
	v_lshrrev_b32_e32 v12, 9, v15
	v_sub_u32_e32 v11, v11, v13
	v_or_b32_e32 v11, v12, v11
	s_mov_b32 s0, 0x3fc90fda
	v_mul_f32_e32 v12, 0x3fc90fda, v11
	v_fma_f32 v13, v11, s0, -v12
	v_fmamk_f32 v11, v11, 0x33a22168, v13
	v_fmac_f32_e32 v11, 0x3fc90fda, v10
	v_lshrrev_b32_e32 v10, 30, v19
	v_add_f32_e32 v12, v12, v11
	v_add_u32_e32 v11, v20, v10
	s_andn2_saveexec_b64 s[0:1], s[16:17]
	s_cbranch_execnz .LBB17_49
	s_branch .LBB17_50
.LBB17_48:
	s_andn2_saveexec_b64 s[0:1], s[16:17]
	s_cbranch_execz .LBB17_50
.LBB17_49:
	s_mov_b32 s4, 0x3f22f983
	v_mul_f32_e64 v10, |v6|, s4
	v_rndne_f32_e32 v10, v10
	s_mov_b32 s4, 0xbfc90fda
	v_cvt_i32_f32_e32 v11, v10
	v_fma_f32 v12, v10, s4, |v6|
	v_fmamk_f32 v12, v10, 0xb3a22168, v12
	v_fmamk_f32 v12, v10, 0xa7c234c4, v12
.LBB17_50:
	s_or_b64 exec, exec, s[0:1]
	s_mov_b32 s4, 0x40a00000
	v_div_scale_f32 v10, s[0:1], v2, v2, s4
	v_rcp_f32_e32 v13, v10
	v_div_scale_f32 v14, vcc, s4, v2, s4
	v_mov_b32_e32 v17, 0x42947983
	v_fma_f32 v15, -v10, v13, 1.0
	v_fmac_f32_e32 v13, v15, v13
	v_mul_f32_e32 v15, v14, v13
	v_fma_f32 v16, -v10, v15, v14
	v_fmac_f32_e32 v15, v16, v13
	v_fma_f32 v10, -v10, v15, v14
	v_div_fmas_f32 v10, v10, v13, v15
	v_div_fixup_f32 v10, v10, v2, s4
	v_mul_f32_e32 v13, v10, v10
	v_mov_b32_e32 v14, 0x3a47c962
	v_mov_b32_e32 v15, 0x3a15c4d9
	v_fmac_f32_e32 v14, 0, v13
	v_fmac_f32_e32 v15, 0, v13
	v_fmaak_f32 v14, v13, v14, 0x3d95ca45
	v_fmaak_f32 v15, v13, v15, 0x3d8cfeeb
	;; [unrolled: 1-line block ×8, first 2 shown]
	v_mov_b32_e32 v16, 0x3d513fd3
	v_fmaak_f32 v14, v13, v14, 0x40a6dd51
	v_fmaak_f32 v15, v13, v15, 0x40a6b6ea
	v_fmac_f32_e32 v16, 0, v13
	v_fma_f32 v15, v13, v15, 1.0
	v_fmaak_f32 v16, v13, v16, 0x409f6dae
	v_fmac_f32_e32 v17, 0, v13
	v_fma_f32 v14, v13, v14, 1.0
	v_fmaak_f32 v16, v13, v16, 0x4297a5cd
	v_fmaak_f32 v17, v13, v17, 0x44840e5d
	v_div_scale_f32 v18, s[0:1], v15, v15, v14
	v_fmaak_f32 v16, v13, v16, 0x43b763ca
	v_fmaak_f32 v17, v13, v17, 0x459bd349
	v_rcp_f32_e32 v19, v18
	v_fmaak_f32 v16, v13, v16, 0x4431b6ce
	v_fmaak_f32 v17, v13, v17, 0x46156947
	;; [unrolled: 1-line block ×8, first 2 shown]
	v_fma_f32 v17, -v18, v19, 1.0
	v_fmac_f32_e32 v19, v17, v19
	v_div_scale_f32 v17, vcc, v14, v15, v14
	v_mul_f32_e32 v20, v17, v19
	v_fma_f32 v21, -v18, v20, v17
	v_fmac_f32_e32 v20, v21, v19
	v_fma_f32 v17, -v18, v20, v17
	v_div_fmas_f32 v17, v17, v19, v20
	v_div_fixup_f32 v14, v17, v15, v14
	v_mul_f32_e32 v15, v9, v9
	v_mov_b32_e32 v17, 0x3c0881c4
	v_fmamk_f32 v18, v15, 0xb94c1982, v17
	v_fmaak_f32 v18, v15, v18, 0xbe2aaa9d
	v_mul_f32_e32 v18, v15, v18
	v_fmac_f32_e32 v9, v9, v18
	v_mov_b32_e32 v18, 0xbab64f3b
	v_fmamk_f32 v20, v15, 0x37d75334, v18
	v_fmaak_f32 v20, v15, v20, 0x3d2aabf7
	v_fmaak_f32 v20, v15, v20, 0xbf000004
	v_fma_f32 v15, v15, v20, 1.0
	v_and_b32_e32 v20, 1, v8
	v_lshlrev_b32_e32 v8, 30, v8
	v_cmp_eq_u32_e32 vcc, 0, v20
	v_and_b32_e32 v8, 0x80000000, v8
	v_xor_b32_e32 v7, v7, v6
	v_cndmask_b32_e32 v9, v15, v9, vcc
	v_xor_b32_e32 v7, v7, v8
	v_div_scale_f32 v8, s[0:1], v13, v13, v16
	v_xor_b32_e32 v7, v7, v9
	v_rcp_f32_e32 v9, v8
	s_movk_i32 s5, 0x1f8
	v_mov_b32_e32 v15, 0x7fc00000
	v_cmp_class_f32_e64 s[0:1], v6, s5
	v_mov_b32_e32 v19, 0xbe2aaa9d
	v_mov_b32_e32 v21, 0x3d2aabf7
	v_cndmask_b32_e64 v6, v15, v7, s[0:1]
	v_fma_f32 v7, -v8, v9, 1.0
	v_fmac_f32_e32 v9, v7, v9
	v_div_scale_f32 v7, vcc, v16, v13, v16
	v_mul_f32_e32 v20, v7, v9
	v_fma_f32 v23, -v8, v20, v7
	v_fmac_f32_e32 v20, v23, v9
	v_fma_f32 v7, -v8, v20, v7
	v_mul_f32_e32 v8, v12, v12
	v_fmac_f32_e32 v17, 0xb94c1982, v8
	v_fmac_f32_e32 v19, v8, v17
	;; [unrolled: 1-line block ×3, first 2 shown]
	v_mov_b32_e32 v22, 0xbf000004
	v_div_fmas_f32 v7, v7, v9, v20
	v_mul_f32_e32 v9, v8, v19
	v_fmac_f32_e32 v21, v8, v18
	v_fmac_f32_e32 v12, v12, v9
	;; [unrolled: 1-line block ×3, first 2 shown]
	v_and_b32_e32 v9, 1, v11
	v_fma_f32 v8, v8, v22, 1.0
	v_cmp_eq_u32_e32 vcc, 0, v9
	s_brev_b32 s4, 1
	v_lshlrev_b32_e32 v9, 30, v11
	v_cndmask_b32_e64 v8, -v12, v8, vcc
	v_bitop3_b32 v8, v9, v8, s4 bitop3:0x6c
	v_cndmask_b32_e64 v8, v15, v8, s[0:1]
	s_mov_b32 s0, 0xf800000
	v_mul_f32_e32 v9, 0x4f800000, v2
	v_cmp_gt_f32_e32 vcc, s0, v2
	v_div_fixup_f32 v7, v7, v13, v16
	v_mul_f32_e32 v7, v10, v7
	v_cndmask_b32_e32 v2, v2, v9, vcc
	v_sqrt_f32_e32 v9, v2
	v_mul_f32_e32 v7, v7, v8
	v_fmac_f32_e32 v7, v14, v6
	v_mul_f32_e32 v6, 0x3f4c422a, v7
	v_add_u32_e32 v7, -1, v9
	v_fma_f32 v8, -v7, v9, v2
	v_cmp_ge_f32_e64 s[0:1], 0, v8
	v_add_u32_e32 v8, 1, v9
	s_nop 0
	v_cndmask_b32_e64 v7, v9, v7, s[0:1]
	v_fma_f32 v9, -v8, v9, v2
	v_cmp_lt_f32_e64 s[0:1], 0, v9
	s_nop 1
	v_cndmask_b32_e64 v7, v7, v8, s[0:1]
	v_mul_f32_e32 v8, 0x37800000, v7
	v_cndmask_b32_e32 v7, v7, v8, vcc
	v_mov_b32_e32 v8, 0x260
	v_cmp_class_f32_e32 vcc, v2, v8
	s_nop 1
	v_cndmask_b32_e32 v2, v7, v2, vcc
	v_div_scale_f32 v7, s[0:1], v2, v2, v6
	v_rcp_f32_e32 v8, v7
	s_nop 0
	v_fma_f32 v9, -v7, v8, 1.0
	v_fmac_f32_e32 v8, v9, v8
	v_div_scale_f32 v9, vcc, v6, v2, v6
	v_mul_f32_e32 v10, v9, v8
	v_fma_f32 v11, -v7, v10, v9
	v_fmac_f32_e32 v10, v11, v8
	v_fma_f32 v7, -v7, v10, v9
	v_div_fmas_f32 v7, v7, v8, v10
	v_div_fixup_f32 v6, v7, v2, v6
.LBB17_51:
	s_or_b64 exec, exec, s[14:15]
	s_mov_b32 s0, 0x40a00000
	v_cmp_ge_f32_e32 vcc, s0, v3
	s_and_saveexec_b64 s[0:1], vcc
	s_xor_b64 s[4:5], exec, s[0:1]
	s_cbranch_execz .LBB17_57
; %bb.52:
	v_cmp_neq_f32_e32 vcc, 0, v3
	v_mov_b32_e32 v7, 0xff800000
	s_and_saveexec_b64 s[6:7], vcc
	s_cbranch_execz .LBB17_56
; %bb.53:
	v_cmp_nge_f32_e32 vcc, 0, v3
	v_mov_b32_e32 v7, 0x7fc00000
	s_and_saveexec_b64 s[14:15], vcc
	s_cbranch_execz .LBB17_55
; %bb.54:
	v_mul_f32_e32 v2, v3, v3
	v_mov_b32_e32 v7, 0x4414934d
	v_fmac_f32_e32 v7, 0, v2
	v_fmaak_f32 v7, v2, v7, 0x48660b06
	s_mov_b32 s0, 0x4e9695f3
	v_mul_f32_e32 v8, 0, v2
	v_mul_f32_e32 v9, v2, v7
	s_mov_b32 s1, 0x4c8c277d
	v_pk_add_f32 v[10:11], v[8:9], s[0:1]
	s_mov_b32 s0, 0xd316b96b
	s_mov_b32 s1, 0x508bc61d
	v_pk_fma_f32 v[10:11], v[2:3], v[10:11], s[0:1] op_sel_hi:[0,1,1]
	s_mov_b32 s0, 0x56d04aa6
	s_mov_b32 s1, 0x5461faf8
	v_pk_fma_f32 v[10:11], v[2:3], v[10:11], s[0:1] op_sel_hi:[0,1,1]
	;; [unrolled: 3-line block ×5, first 2 shown]
	v_div_scale_f32 v7, s[0:1], v11, v11, v10
	v_rcp_f32_e32 v12, v7
	s_mov_b32 s0, 0xce5691e2
	s_mov_b32 s1, 0x548a37dc
	v_fma_f32 v9, -v7, v12, 1.0
	v_fmac_f32_e32 v12, v9, v12
	v_div_scale_f32 v9, vcc, v10, v11, v10
	v_mul_f32_e32 v13, v9, v12
	v_fma_f32 v14, -v7, v13, v9
	v_fmac_f32_e32 v13, v14, v12
	v_fma_f32 v7, -v7, v13, v9
	v_mov_b32_e32 v9, 0x441b3589
	v_fmac_f32_e32 v9, 0, v2
	v_fmaak_f32 v9, v2, v9, 0x487af6d0
	v_fmaak_f32 v9, v2, v9, 0x4c9f4aa7
	;; [unrolled: 1-line block ×3, first 2 shown]
	v_mul_f32_e32 v9, v2, v9
	v_pk_add_f32 v[8:9], v[8:9], s[0:1]
	s_mov_b32 s0, 0x52d295d0
	s_mov_b32 s1, 0x58325852
	v_pk_fma_f32 v[8:9], v[2:3], v[8:9], s[0:1] op_sel_hi:[0,1,1]
	s_mov_b32 s0, 0xd6845497
	s_mov_b32 s1, 0x5b9f0600
	v_pk_fma_f32 v[8:9], v[2:3], v[8:9], s[0:1] op_sel_hi:[0,1,1]
	;; [unrolled: 3-line block ×3, first 2 shown]
	v_div_scale_f32 v14, s[0:1], v9, v9, v8
	v_rcp_f32_e32 v15, v14
	v_div_fmas_f32 v7, v7, v12, v13
	v_div_fixup_f32 v10, v7, v11, v10
	s_mov_b32 s0, 0xc244dfb3
	v_fma_f32 v7, -v14, v15, 1.0
	v_fmac_f32_e32 v15, v7, v15
	v_div_scale_f32 v7, vcc, v8, v9, v8
	v_mul_f32_e32 v11, v7, v15
	v_fma_f32 v12, -v14, v11, v7
	v_fmac_f32_e32 v11, v12, v15
	v_fma_f32 v7, -v14, v11, v7
	v_div_fmas_f32 v7, v7, v15, v11
	s_mov_b32 s1, 0xc16ae95a
	v_div_fixup_f32 v7, v7, v9, v8
	v_pk_add_f32 v[8:9], v[2:3], s[0:1] op_sel_hi:[0,1]
	s_mov_b32 s0, 0x800000
	v_cmp_gt_f32_e32 vcc, s0, v3
	v_mul_f32_e32 v7, v3, v7
	v_mul_f32_e32 v7, v9, v7
	v_cndmask_b32_e64 v2, 0, 32, vcc
	v_ldexp_f32 v2, v3, v2
	v_log_f32_e32 v2, v2
	v_mul_f32_e32 v7, v8, v7
	s_mov_b32 s0, 0x3f317217
	v_mov_b32_e32 v11, 0x41b17218
	v_mul_f32_e32 v8, 0x3f317217, v2
	v_fma_f32 v8, v2, s0, -v8
	v_fmamk_f32 v8, v2, 0x3377d1cf, v8
	s_mov_b32 s0, 0x7f800000
	v_fmac_f32_e32 v8, 0x3f317217, v2
	v_cmp_lt_f32_e64 s[0:1], |v2|, s0
	v_cndmask_b32_e32 v11, 0, v11, vcc
	s_nop 0
	v_cndmask_b32_e64 v2, v2, v8, s[0:1]
	v_div_scale_f32 v8, s[0:1], v3, v3, -1.0
	v_rcp_f32_e32 v9, v8
	v_sub_f32_e32 v2, v2, v11
	v_fma_f32 v11, -v8, v9, 1.0
	v_fmac_f32_e32 v9, v11, v9
	v_div_scale_f32 v11, vcc, -1.0, v3, -1.0
	v_mul_f32_e32 v12, v11, v9
	v_fma_f32 v13, -v8, v12, v11
	v_fmac_f32_e32 v12, v13, v9
	v_fma_f32 v8, -v8, v12, v11
	v_div_fmas_f32 v8, v8, v9, v12
	v_div_fixup_f32 v8, v8, v3, -1.0
	v_fmac_f32_e32 v8, v2, v7
	v_mul_f32_e32 v7, 0x3f22f983, v8
	v_fmac_f32_e32 v7, v3, v10
.LBB17_55:
	s_or_b64 exec, exec, s[14:15]
.LBB17_56:
	s_or_b64 exec, exec, s[6:7]
                                        ; implicit-def: $vgpr2_vgpr3
.LBB17_57:
	s_andn2_saveexec_b64 s[14:15], s[4:5]
	s_cbranch_execz .LBB17_67
; %bb.58:
	v_add_f32_e32 v2, 0xc016cbe4, v3
	v_and_b32_e32 v7, 0x7fffffff, v2
	s_brev_b32 s0, 18
	v_cmp_nlt_f32_e64 s[16:17], |v2|, s0
	v_lshrrev_b32_e32 v10, 23, v7
                                        ; implicit-def: $vgpr8
                                        ; implicit-def: $vgpr9
	s_and_saveexec_b64 s[0:1], s[16:17]
	s_xor_b64 s[18:19], exec, s[0:1]
	s_cbranch_execz .LBB17_60
; %bb.59:
	v_add_u32_e32 v8, 0xffffff88, v10
	v_not_b32_e32 v9, 63
	v_cmp_lt_u32_e32 vcc, 63, v8
	s_mov_b32 s6, 0xfe5163ab
	v_mov_b32_e32 v13, 0
	v_cndmask_b32_e32 v9, 0, v9, vcc
	v_add_u32_e32 v8, v9, v8
	v_not_b32_e32 v9, 31
	v_cmp_lt_u32_e64 s[0:1], 31, v8
	s_nop 1
	v_cndmask_b32_e64 v11, 0, v9, s[0:1]
	v_add_u32_e32 v8, v11, v8
	v_cmp_lt_u32_e64 s[4:5], 31, v8
	s_nop 1
	v_cndmask_b32_e64 v9, 0, v9, s[4:5]
	v_add_u32_e32 v11, v9, v8
	v_and_b32_e32 v8, 0x7fffff, v7
	v_or_b32_e32 v24, 0x800000, v8
	v_mad_u64_u32 v[8:9], s[6:7], v24, s6, 0
	v_mov_b32_e32 v12, v9
	s_mov_b32 s6, 0x3c439041
	v_mad_u64_u32 v[14:15], s[6:7], v24, s6, v[12:13]
	v_mov_b32_e32 v12, v15
	s_mov_b32 s6, 0xdb629599
	;; [unrolled: 3-line block ×6, first 2 shown]
	v_mad_u64_u32 v[12:13], s[6:7], v24, s6, v[12:13]
	v_cndmask_b32_e32 v9, v22, v18, vcc
	v_cndmask_b32_e32 v12, v12, v20, vcc
	;; [unrolled: 1-line block ×3, first 2 shown]
	v_cndmask_b32_e64 v15, v12, v9, s[0:1]
	v_cndmask_b32_e64 v12, v13, v12, s[0:1]
	v_cndmask_b32_e32 v13, v20, v16, vcc
	v_cndmask_b32_e64 v9, v9, v13, s[0:1]
	v_cndmask_b32_e64 v12, v12, v15, s[4:5]
	;; [unrolled: 1-line block ×3, first 2 shown]
	v_sub_u32_e32 v17, 32, v11
	v_alignbit_b32 v19, v12, v15, v17
	v_cmp_eq_u32_e64 s[6:7], 0, v11
	v_cndmask_b32_e32 v8, v16, v8, vcc
	s_nop 0
	v_cndmask_b32_e64 v11, v19, v12, s[6:7]
	v_cndmask_b32_e32 v12, v18, v14, vcc
	v_cndmask_b32_e64 v13, v13, v12, s[0:1]
	v_cndmask_b32_e64 v9, v9, v13, s[4:5]
	v_alignbit_b32 v14, v15, v9, v17
	v_cndmask_b32_e64 v14, v14, v15, s[6:7]
	v_bfe_u32 v19, v11, 29, 1
	v_cndmask_b32_e64 v8, v12, v8, s[0:1]
	v_alignbit_b32 v15, v11, v14, 30
	v_sub_u32_e32 v20, 0, v19
	v_cndmask_b32_e64 v8, v13, v8, s[4:5]
	v_xor_b32_e32 v15, v15, v20
	v_alignbit_b32 v12, v9, v8, v17
	v_cndmask_b32_e64 v9, v12, v9, s[6:7]
	v_ffbh_u32_e32 v13, v15
	v_alignbit_b32 v12, v14, v9, 30
	v_min_u32_e32 v13, 32, v13
	v_alignbit_b32 v8, v9, v8, 30
	v_xor_b32_e32 v12, v12, v20
	v_sub_u32_e32 v14, 31, v13
	v_xor_b32_e32 v8, v8, v20
	v_alignbit_b32 v15, v15, v12, v14
	v_alignbit_b32 v8, v12, v8, v14
	;; [unrolled: 1-line block ×3, first 2 shown]
	v_ffbh_u32_e32 v12, v9
	v_min_u32_e32 v12, 32, v12
	v_lshrrev_b32_e32 v18, 29, v11
	v_not_b32_e32 v14, v12
	v_alignbit_b32 v8, v9, v8, v14
	v_lshlrev_b32_e32 v9, 31, v18
	v_or_b32_e32 v14, 0x33000000, v9
	v_add_lshl_u32 v12, v12, v13, 23
	v_lshrrev_b32_e32 v8, 9, v8
	v_sub_u32_e32 v12, v14, v12
	v_or_b32_e32 v9, 0.5, v9
	v_lshlrev_b32_e32 v13, 23, v13
	v_or_b32_e32 v8, v12, v8
	v_lshrrev_b32_e32 v12, 9, v15
	v_sub_u32_e32 v9, v9, v13
	v_or_b32_e32 v9, v12, v9
	s_mov_b32 s0, 0x3fc90fda
	v_mul_f32_e32 v12, 0x3fc90fda, v9
	v_fma_f32 v13, v9, s0, -v12
	v_fmamk_f32 v9, v9, 0x33a22168, v13
	v_fmac_f32_e32 v9, 0x3fc90fda, v8
	v_lshrrev_b32_e32 v8, 30, v11
	v_add_f32_e32 v9, v12, v9
	v_add_u32_e32 v8, v19, v8
	s_andn2_saveexec_b64 s[0:1], s[18:19]
	s_cbranch_execz .LBB17_62
	s_branch .LBB17_61
.LBB17_60:
	s_andn2_saveexec_b64 s[0:1], s[18:19]
	s_cbranch_execz .LBB17_62
.LBB17_61:
	s_mov_b32 s4, 0x3f22f983
	v_mul_f32_e64 v8, |v2|, s4
	v_rndne_f32_e32 v9, v8
	s_mov_b32 s4, 0xbfc90fda
	v_cvt_i32_f32_e32 v8, v9
	v_fma_f32 v11, v9, s4, |v2|
	v_fmamk_f32 v11, v9, 0xb3a22168, v11
	v_fmamk_f32 v9, v9, 0xa7c234c4, v11
.LBB17_62:
	s_or_b64 exec, exec, s[0:1]
                                        ; implicit-def: $vgpr11
                                        ; implicit-def: $vgpr12
	s_and_saveexec_b64 s[0:1], s[16:17]
	s_xor_b64 s[16:17], exec, s[0:1]
	s_cbranch_execz .LBB17_64
; %bb.63:
	v_add_u32_e32 v10, 0xffffff88, v10
	v_not_b32_e32 v11, 63
	v_cmp_lt_u32_e32 vcc, 63, v10
	s_mov_b32 s6, 0xfe5163ab
	v_mov_b32_e32 v13, 0
	v_cndmask_b32_e32 v11, 0, v11, vcc
	v_add_u32_e32 v10, v11, v10
	v_not_b32_e32 v11, 31
	v_cmp_lt_u32_e64 s[0:1], 31, v10
	s_nop 1
	v_cndmask_b32_e64 v12, 0, v11, s[0:1]
	v_add_u32_e32 v10, v12, v10
	v_cmp_lt_u32_e64 s[4:5], 31, v10
	s_nop 1
	v_cndmask_b32_e64 v11, 0, v11, s[4:5]
	v_add_u32_e32 v24, v11, v10
	v_and_b32_e32 v10, 0x7fffff, v7
	v_or_b32_e32 v25, 0x800000, v10
	v_mad_u64_u32 v[10:11], s[6:7], v25, s6, 0
	v_mov_b32_e32 v12, v11
	s_mov_b32 s6, 0x3c439041
	v_mad_u64_u32 v[14:15], s[6:7], v25, s6, v[12:13]
	v_mov_b32_e32 v12, v15
	s_mov_b32 s6, 0xdb629599
	;; [unrolled: 3-line block ×6, first 2 shown]
	v_mad_u64_u32 v[12:13], s[6:7], v25, s6, v[12:13]
	v_cndmask_b32_e32 v11, v22, v18, vcc
	v_cndmask_b32_e32 v12, v12, v20, vcc
	;; [unrolled: 1-line block ×3, first 2 shown]
	v_cndmask_b32_e64 v15, v12, v11, s[0:1]
	v_cndmask_b32_e64 v12, v13, v12, s[0:1]
	v_cndmask_b32_e32 v13, v20, v16, vcc
	v_cndmask_b32_e64 v11, v11, v13, s[0:1]
	v_cndmask_b32_e64 v12, v12, v15, s[4:5]
	;; [unrolled: 1-line block ×3, first 2 shown]
	v_sub_u32_e32 v17, 32, v24
	v_alignbit_b32 v19, v12, v15, v17
	v_cmp_eq_u32_e64 s[6:7], 0, v24
	v_cndmask_b32_e32 v10, v16, v10, vcc
	s_nop 0
	v_cndmask_b32_e64 v19, v19, v12, s[6:7]
	v_cndmask_b32_e32 v12, v18, v14, vcc
	v_cndmask_b32_e64 v13, v13, v12, s[0:1]
	v_cndmask_b32_e64 v11, v11, v13, s[4:5]
	v_alignbit_b32 v14, v15, v11, v17
	v_cndmask_b32_e64 v14, v14, v15, s[6:7]
	v_bfe_u32 v20, v19, 29, 1
	v_cndmask_b32_e64 v10, v12, v10, s[0:1]
	v_alignbit_b32 v15, v19, v14, 30
	v_sub_u32_e32 v21, 0, v20
	v_cndmask_b32_e64 v10, v13, v10, s[4:5]
	v_xor_b32_e32 v15, v15, v21
	v_alignbit_b32 v12, v11, v10, v17
	v_cndmask_b32_e64 v11, v12, v11, s[6:7]
	v_ffbh_u32_e32 v13, v15
	v_alignbit_b32 v12, v14, v11, 30
	v_min_u32_e32 v13, 32, v13
	v_alignbit_b32 v10, v11, v10, 30
	v_xor_b32_e32 v12, v12, v21
	v_sub_u32_e32 v14, 31, v13
	v_xor_b32_e32 v10, v10, v21
	v_alignbit_b32 v15, v15, v12, v14
	v_alignbit_b32 v10, v12, v10, v14
	;; [unrolled: 1-line block ×3, first 2 shown]
	v_ffbh_u32_e32 v12, v11
	v_min_u32_e32 v12, 32, v12
	v_lshrrev_b32_e32 v18, 29, v19
	v_not_b32_e32 v14, v12
	v_alignbit_b32 v10, v11, v10, v14
	v_lshlrev_b32_e32 v11, 31, v18
	v_or_b32_e32 v14, 0x33000000, v11
	v_add_lshl_u32 v12, v12, v13, 23
	v_lshrrev_b32_e32 v10, 9, v10
	v_sub_u32_e32 v12, v14, v12
	v_or_b32_e32 v11, 0.5, v11
	v_lshlrev_b32_e32 v13, 23, v13
	v_or_b32_e32 v10, v12, v10
	v_lshrrev_b32_e32 v12, 9, v15
	v_sub_u32_e32 v11, v11, v13
	v_or_b32_e32 v11, v12, v11
	s_mov_b32 s0, 0x3fc90fda
	v_mul_f32_e32 v12, 0x3fc90fda, v11
	v_fma_f32 v13, v11, s0, -v12
	v_fmamk_f32 v11, v11, 0x33a22168, v13
	v_fmac_f32_e32 v11, 0x3fc90fda, v10
	v_lshrrev_b32_e32 v10, 30, v19
	v_add_f32_e32 v12, v12, v11
	v_add_u32_e32 v11, v20, v10
	s_andn2_saveexec_b64 s[0:1], s[16:17]
	s_cbranch_execnz .LBB17_65
	s_branch .LBB17_66
.LBB17_64:
	s_andn2_saveexec_b64 s[0:1], s[16:17]
	s_cbranch_execz .LBB17_66
.LBB17_65:
	s_mov_b32 s4, 0x3f22f983
	v_mul_f32_e64 v10, |v2|, s4
	v_rndne_f32_e32 v10, v10
	s_mov_b32 s4, 0xbfc90fda
	v_cvt_i32_f32_e32 v11, v10
	v_fma_f32 v12, v10, s4, |v2|
	v_fmamk_f32 v12, v10, 0xb3a22168, v12
	v_fmamk_f32 v12, v10, 0xa7c234c4, v12
.LBB17_66:
	s_or_b64 exec, exec, s[0:1]
	s_mov_b32 s4, 0x40a00000
	v_div_scale_f32 v10, s[0:1], v3, v3, s4
	v_rcp_f32_e32 v13, v10
	v_div_scale_f32 v14, vcc, s4, v3, s4
	v_mov_b32_e32 v17, 0x42947983
	v_fma_f32 v15, -v10, v13, 1.0
	v_fmac_f32_e32 v13, v15, v13
	v_mul_f32_e32 v15, v14, v13
	v_fma_f32 v16, -v10, v15, v14
	v_fmac_f32_e32 v15, v16, v13
	v_fma_f32 v10, -v10, v15, v14
	v_div_fmas_f32 v10, v10, v13, v15
	v_div_fixup_f32 v10, v10, v3, s4
	v_mul_f32_e32 v13, v10, v10
	v_mov_b32_e32 v14, 0x3a47c962
	v_mov_b32_e32 v15, 0x3a15c4d9
	v_fmac_f32_e32 v14, 0, v13
	v_fmac_f32_e32 v15, 0, v13
	v_fmaak_f32 v14, v13, v14, 0x3d95ca45
	v_fmaak_f32 v15, v13, v15, 0x3d8cfeeb
	;; [unrolled: 1-line block ×8, first 2 shown]
	v_mov_b32_e32 v16, 0x3d513fd3
	v_fmaak_f32 v14, v13, v14, 0x40a6dd51
	v_fmaak_f32 v15, v13, v15, 0x40a6b6ea
	v_fmac_f32_e32 v16, 0, v13
	v_fma_f32 v15, v13, v15, 1.0
	v_fmaak_f32 v16, v13, v16, 0x409f6dae
	v_fmac_f32_e32 v17, 0, v13
	v_fma_f32 v14, v13, v14, 1.0
	v_fmaak_f32 v16, v13, v16, 0x4297a5cd
	v_fmaak_f32 v17, v13, v17, 0x44840e5d
	v_div_scale_f32 v18, s[0:1], v15, v15, v14
	v_fmaak_f32 v16, v13, v16, 0x43b763ca
	v_fmaak_f32 v17, v13, v17, 0x459bd349
	v_rcp_f32_e32 v19, v18
	v_fmaak_f32 v16, v13, v16, 0x4431b6ce
	v_fmaak_f32 v17, v13, v17, 0x46156947
	;; [unrolled: 1-line block ×8, first 2 shown]
	v_fma_f32 v17, -v18, v19, 1.0
	v_fmac_f32_e32 v19, v17, v19
	v_div_scale_f32 v17, vcc, v14, v15, v14
	v_mul_f32_e32 v20, v17, v19
	v_fma_f32 v21, -v18, v20, v17
	v_fmac_f32_e32 v20, v21, v19
	v_fma_f32 v17, -v18, v20, v17
	v_div_fmas_f32 v17, v17, v19, v20
	v_div_fixup_f32 v14, v17, v15, v14
	v_mul_f32_e32 v15, v9, v9
	v_mov_b32_e32 v17, 0x3c0881c4
	v_fmamk_f32 v18, v15, 0xb94c1982, v17
	v_fmaak_f32 v18, v15, v18, 0xbe2aaa9d
	v_mul_f32_e32 v18, v15, v18
	v_fmac_f32_e32 v9, v9, v18
	v_mov_b32_e32 v18, 0xbab64f3b
	v_fmamk_f32 v20, v15, 0x37d75334, v18
	v_fmaak_f32 v20, v15, v20, 0x3d2aabf7
	v_fmaak_f32 v20, v15, v20, 0xbf000004
	v_fma_f32 v15, v15, v20, 1.0
	v_and_b32_e32 v20, 1, v8
	v_lshlrev_b32_e32 v8, 30, v8
	v_cmp_eq_u32_e32 vcc, 0, v20
	v_and_b32_e32 v8, 0x80000000, v8
	v_xor_b32_e32 v7, v7, v2
	v_cndmask_b32_e32 v9, v15, v9, vcc
	v_xor_b32_e32 v7, v7, v8
	v_div_scale_f32 v8, s[0:1], v13, v13, v16
	v_xor_b32_e32 v7, v7, v9
	v_rcp_f32_e32 v9, v8
	s_movk_i32 s5, 0x1f8
	v_mov_b32_e32 v15, 0x7fc00000
	v_cmp_class_f32_e64 s[0:1], v2, s5
	v_mov_b32_e32 v19, 0xbe2aaa9d
	v_mov_b32_e32 v21, 0x3d2aabf7
	v_cndmask_b32_e64 v2, v15, v7, s[0:1]
	v_fma_f32 v7, -v8, v9, 1.0
	v_fmac_f32_e32 v9, v7, v9
	v_div_scale_f32 v7, vcc, v16, v13, v16
	v_mul_f32_e32 v20, v7, v9
	v_fma_f32 v23, -v8, v20, v7
	v_fmac_f32_e32 v20, v23, v9
	v_fma_f32 v7, -v8, v20, v7
	v_mul_f32_e32 v8, v12, v12
	v_fmac_f32_e32 v17, 0xb94c1982, v8
	v_fmac_f32_e32 v19, v8, v17
	;; [unrolled: 1-line block ×3, first 2 shown]
	v_mov_b32_e32 v22, 0xbf000004
	v_div_fmas_f32 v7, v7, v9, v20
	v_mul_f32_e32 v9, v8, v19
	v_fmac_f32_e32 v21, v8, v18
	v_fmac_f32_e32 v12, v12, v9
	;; [unrolled: 1-line block ×3, first 2 shown]
	v_and_b32_e32 v9, 1, v11
	v_fma_f32 v8, v8, v22, 1.0
	v_cmp_eq_u32_e32 vcc, 0, v9
	s_brev_b32 s4, 1
	v_lshlrev_b32_e32 v9, 30, v11
	v_cndmask_b32_e64 v8, -v12, v8, vcc
	v_bitop3_b32 v8, v9, v8, s4 bitop3:0x6c
	v_cndmask_b32_e64 v8, v15, v8, s[0:1]
	s_mov_b32 s0, 0xf800000
	v_mul_f32_e32 v9, 0x4f800000, v3
	v_cmp_gt_f32_e32 vcc, s0, v3
	v_div_fixup_f32 v7, v7, v13, v16
	v_mul_f32_e32 v7, v10, v7
	v_cndmask_b32_e32 v3, v3, v9, vcc
	v_sqrt_f32_e32 v9, v3
	v_mul_f32_e32 v7, v7, v8
	v_fmac_f32_e32 v7, v14, v2
	v_mul_f32_e32 v2, 0x3f4c422a, v7
	v_add_u32_e32 v7, -1, v9
	v_fma_f32 v8, -v7, v9, v3
	v_cmp_ge_f32_e64 s[0:1], 0, v8
	v_add_u32_e32 v8, 1, v9
	s_nop 0
	v_cndmask_b32_e64 v7, v9, v7, s[0:1]
	v_fma_f32 v9, -v8, v9, v3
	v_cmp_lt_f32_e64 s[0:1], 0, v9
	s_nop 1
	v_cndmask_b32_e64 v7, v7, v8, s[0:1]
	v_mul_f32_e32 v8, 0x37800000, v7
	v_cndmask_b32_e32 v7, v7, v8, vcc
	v_mov_b32_e32 v8, 0x260
	v_cmp_class_f32_e32 vcc, v3, v8
	s_nop 1
	v_cndmask_b32_e32 v3, v7, v3, vcc
	v_div_scale_f32 v7, s[0:1], v3, v3, v2
	v_rcp_f32_e32 v8, v7
	s_nop 0
	v_fma_f32 v9, -v7, v8, 1.0
	v_fmac_f32_e32 v8, v9, v8
	v_div_scale_f32 v9, vcc, v2, v3, v2
	v_mul_f32_e32 v10, v9, v8
	v_fma_f32 v11, -v7, v10, v9
	v_fmac_f32_e32 v10, v11, v8
	v_fma_f32 v7, -v7, v10, v9
	v_div_fmas_f32 v7, v7, v8, v10
	v_div_fixup_f32 v7, v7, v3, v2
.LBB17_67:
	s_or_b64 exec, exec, s[14:15]
	s_add_u32 s0, s8, s12
	s_addc_u32 s1, s9, s13
	global_store_dwordx2 v1, v[4:5], s[0:1]
	global_store_dwordx2 v1, v[6:7], s[0:1] offset:2048
.LBB17_68:
	s_endpgm
	.section	.rodata,"a",@progbits
	.p2align	6, 0x0
	.amdhsa_kernel _ZN2at6native29vectorized_elementwise_kernelILi2EZZZNS0_12_GLOBAL__N_121bessel_y1_kernel_cudaERNS_18TensorIteratorBaseEENKUlvE_clEvENKUlvE0_clEvEUlfE_St5arrayIPcLm2EEEEviT0_T1_
		.amdhsa_group_segment_fixed_size 0
		.amdhsa_private_segment_fixed_size 0
		.amdhsa_kernarg_size 24
		.amdhsa_user_sgpr_count 2
		.amdhsa_user_sgpr_dispatch_ptr 0
		.amdhsa_user_sgpr_queue_ptr 0
		.amdhsa_user_sgpr_kernarg_segment_ptr 1
		.amdhsa_user_sgpr_dispatch_id 0
		.amdhsa_user_sgpr_kernarg_preload_length 0
		.amdhsa_user_sgpr_kernarg_preload_offset 0
		.amdhsa_user_sgpr_private_segment_size 0
		.amdhsa_uses_dynamic_stack 0
		.amdhsa_enable_private_segment 0
		.amdhsa_system_sgpr_workgroup_id_x 1
		.amdhsa_system_sgpr_workgroup_id_y 0
		.amdhsa_system_sgpr_workgroup_id_z 0
		.amdhsa_system_sgpr_workgroup_info 0
		.amdhsa_system_vgpr_workitem_id 0
		.amdhsa_next_free_vgpr 32
		.amdhsa_next_free_sgpr 33
		.amdhsa_accum_offset 32
		.amdhsa_reserve_vcc 1
		.amdhsa_float_round_mode_32 0
		.amdhsa_float_round_mode_16_64 0
		.amdhsa_float_denorm_mode_32 3
		.amdhsa_float_denorm_mode_16_64 3
		.amdhsa_dx10_clamp 1
		.amdhsa_ieee_mode 1
		.amdhsa_fp16_overflow 0
		.amdhsa_tg_split 0
		.amdhsa_exception_fp_ieee_invalid_op 0
		.amdhsa_exception_fp_denorm_src 0
		.amdhsa_exception_fp_ieee_div_zero 0
		.amdhsa_exception_fp_ieee_overflow 0
		.amdhsa_exception_fp_ieee_underflow 0
		.amdhsa_exception_fp_ieee_inexact 0
		.amdhsa_exception_int_div_zero 0
	.end_amdhsa_kernel
	.section	.text._ZN2at6native29vectorized_elementwise_kernelILi2EZZZNS0_12_GLOBAL__N_121bessel_y1_kernel_cudaERNS_18TensorIteratorBaseEENKUlvE_clEvENKUlvE0_clEvEUlfE_St5arrayIPcLm2EEEEviT0_T1_,"axG",@progbits,_ZN2at6native29vectorized_elementwise_kernelILi2EZZZNS0_12_GLOBAL__N_121bessel_y1_kernel_cudaERNS_18TensorIteratorBaseEENKUlvE_clEvENKUlvE0_clEvEUlfE_St5arrayIPcLm2EEEEviT0_T1_,comdat
.Lfunc_end17:
	.size	_ZN2at6native29vectorized_elementwise_kernelILi2EZZZNS0_12_GLOBAL__N_121bessel_y1_kernel_cudaERNS_18TensorIteratorBaseEENKUlvE_clEvENKUlvE0_clEvEUlfE_St5arrayIPcLm2EEEEviT0_T1_, .Lfunc_end17-_ZN2at6native29vectorized_elementwise_kernelILi2EZZZNS0_12_GLOBAL__N_121bessel_y1_kernel_cudaERNS_18TensorIteratorBaseEENKUlvE_clEvENKUlvE0_clEvEUlfE_St5arrayIPcLm2EEEEviT0_T1_
                                        ; -- End function
	.set _ZN2at6native29vectorized_elementwise_kernelILi2EZZZNS0_12_GLOBAL__N_121bessel_y1_kernel_cudaERNS_18TensorIteratorBaseEENKUlvE_clEvENKUlvE0_clEvEUlfE_St5arrayIPcLm2EEEEviT0_T1_.num_vgpr, max(32, .L_ZN2at6native25elementwise_kernel_helperILb0EZZZNS0_12_GLOBAL__N_121bessel_y1_kernel_cudaERNS_18TensorIteratorBaseEENKUlvE_clEvENKUlvE0_clEvEUlfE_NS0_6memory8policies11unroll_baseILi256ESt5arrayIPcLm2EE23TrivialOffsetCalculatorILi1EjESF_NS8_15LoadWithoutCastENS8_16StoreWithoutCastELi4ELi1EEEEEvT0_T1_.num_vgpr)
	.set _ZN2at6native29vectorized_elementwise_kernelILi2EZZZNS0_12_GLOBAL__N_121bessel_y1_kernel_cudaERNS_18TensorIteratorBaseEENKUlvE_clEvENKUlvE0_clEvEUlfE_St5arrayIPcLm2EEEEviT0_T1_.num_agpr, max(0, .L_ZN2at6native25elementwise_kernel_helperILb0EZZZNS0_12_GLOBAL__N_121bessel_y1_kernel_cudaERNS_18TensorIteratorBaseEENKUlvE_clEvENKUlvE0_clEvEUlfE_NS0_6memory8policies11unroll_baseILi256ESt5arrayIPcLm2EE23TrivialOffsetCalculatorILi1EjESF_NS8_15LoadWithoutCastENS8_16StoreWithoutCastELi4ELi1EEEEEvT0_T1_.num_agpr)
	.set _ZN2at6native29vectorized_elementwise_kernelILi2EZZZNS0_12_GLOBAL__N_121bessel_y1_kernel_cudaERNS_18TensorIteratorBaseEENKUlvE_clEvENKUlvE0_clEvEUlfE_St5arrayIPcLm2EEEEviT0_T1_.numbered_sgpr, max(33, .L_ZN2at6native25elementwise_kernel_helperILb0EZZZNS0_12_GLOBAL__N_121bessel_y1_kernel_cudaERNS_18TensorIteratorBaseEENKUlvE_clEvENKUlvE0_clEvEUlfE_NS0_6memory8policies11unroll_baseILi256ESt5arrayIPcLm2EE23TrivialOffsetCalculatorILi1EjESF_NS8_15LoadWithoutCastENS8_16StoreWithoutCastELi4ELi1EEEEEvT0_T1_.numbered_sgpr)
	.set _ZN2at6native29vectorized_elementwise_kernelILi2EZZZNS0_12_GLOBAL__N_121bessel_y1_kernel_cudaERNS_18TensorIteratorBaseEENKUlvE_clEvENKUlvE0_clEvEUlfE_St5arrayIPcLm2EEEEviT0_T1_.num_named_barrier, max(0, .L_ZN2at6native25elementwise_kernel_helperILb0EZZZNS0_12_GLOBAL__N_121bessel_y1_kernel_cudaERNS_18TensorIteratorBaseEENKUlvE_clEvENKUlvE0_clEvEUlfE_NS0_6memory8policies11unroll_baseILi256ESt5arrayIPcLm2EE23TrivialOffsetCalculatorILi1EjESF_NS8_15LoadWithoutCastENS8_16StoreWithoutCastELi4ELi1EEEEEvT0_T1_.num_named_barrier)
	.set _ZN2at6native29vectorized_elementwise_kernelILi2EZZZNS0_12_GLOBAL__N_121bessel_y1_kernel_cudaERNS_18TensorIteratorBaseEENKUlvE_clEvENKUlvE0_clEvEUlfE_St5arrayIPcLm2EEEEviT0_T1_.private_seg_size, 0+max(.L_ZN2at6native25elementwise_kernel_helperILb0EZZZNS0_12_GLOBAL__N_121bessel_y1_kernel_cudaERNS_18TensorIteratorBaseEENKUlvE_clEvENKUlvE0_clEvEUlfE_NS0_6memory8policies11unroll_baseILi256ESt5arrayIPcLm2EE23TrivialOffsetCalculatorILi1EjESF_NS8_15LoadWithoutCastENS8_16StoreWithoutCastELi4ELi1EEEEEvT0_T1_.private_seg_size)
	.set _ZN2at6native29vectorized_elementwise_kernelILi2EZZZNS0_12_GLOBAL__N_121bessel_y1_kernel_cudaERNS_18TensorIteratorBaseEENKUlvE_clEvENKUlvE0_clEvEUlfE_St5arrayIPcLm2EEEEviT0_T1_.uses_vcc, or(1, .L_ZN2at6native25elementwise_kernel_helperILb0EZZZNS0_12_GLOBAL__N_121bessel_y1_kernel_cudaERNS_18TensorIteratorBaseEENKUlvE_clEvENKUlvE0_clEvEUlfE_NS0_6memory8policies11unroll_baseILi256ESt5arrayIPcLm2EE23TrivialOffsetCalculatorILi1EjESF_NS8_15LoadWithoutCastENS8_16StoreWithoutCastELi4ELi1EEEEEvT0_T1_.uses_vcc)
	.set _ZN2at6native29vectorized_elementwise_kernelILi2EZZZNS0_12_GLOBAL__N_121bessel_y1_kernel_cudaERNS_18TensorIteratorBaseEENKUlvE_clEvENKUlvE0_clEvEUlfE_St5arrayIPcLm2EEEEviT0_T1_.uses_flat_scratch, or(0, .L_ZN2at6native25elementwise_kernel_helperILb0EZZZNS0_12_GLOBAL__N_121bessel_y1_kernel_cudaERNS_18TensorIteratorBaseEENKUlvE_clEvENKUlvE0_clEvEUlfE_NS0_6memory8policies11unroll_baseILi256ESt5arrayIPcLm2EE23TrivialOffsetCalculatorILi1EjESF_NS8_15LoadWithoutCastENS8_16StoreWithoutCastELi4ELi1EEEEEvT0_T1_.uses_flat_scratch)
	.set _ZN2at6native29vectorized_elementwise_kernelILi2EZZZNS0_12_GLOBAL__N_121bessel_y1_kernel_cudaERNS_18TensorIteratorBaseEENKUlvE_clEvENKUlvE0_clEvEUlfE_St5arrayIPcLm2EEEEviT0_T1_.has_dyn_sized_stack, or(0, .L_ZN2at6native25elementwise_kernel_helperILb0EZZZNS0_12_GLOBAL__N_121bessel_y1_kernel_cudaERNS_18TensorIteratorBaseEENKUlvE_clEvENKUlvE0_clEvEUlfE_NS0_6memory8policies11unroll_baseILi256ESt5arrayIPcLm2EE23TrivialOffsetCalculatorILi1EjESF_NS8_15LoadWithoutCastENS8_16StoreWithoutCastELi4ELi1EEEEEvT0_T1_.has_dyn_sized_stack)
	.set _ZN2at6native29vectorized_elementwise_kernelILi2EZZZNS0_12_GLOBAL__N_121bessel_y1_kernel_cudaERNS_18TensorIteratorBaseEENKUlvE_clEvENKUlvE0_clEvEUlfE_St5arrayIPcLm2EEEEviT0_T1_.has_recursion, or(0, .L_ZN2at6native25elementwise_kernel_helperILb0EZZZNS0_12_GLOBAL__N_121bessel_y1_kernel_cudaERNS_18TensorIteratorBaseEENKUlvE_clEvENKUlvE0_clEvEUlfE_NS0_6memory8policies11unroll_baseILi256ESt5arrayIPcLm2EE23TrivialOffsetCalculatorILi1EjESF_NS8_15LoadWithoutCastENS8_16StoreWithoutCastELi4ELi1EEEEEvT0_T1_.has_recursion)
	.set _ZN2at6native29vectorized_elementwise_kernelILi2EZZZNS0_12_GLOBAL__N_121bessel_y1_kernel_cudaERNS_18TensorIteratorBaseEENKUlvE_clEvENKUlvE0_clEvEUlfE_St5arrayIPcLm2EEEEviT0_T1_.has_indirect_call, or(0, .L_ZN2at6native25elementwise_kernel_helperILb0EZZZNS0_12_GLOBAL__N_121bessel_y1_kernel_cudaERNS_18TensorIteratorBaseEENKUlvE_clEvENKUlvE0_clEvEUlfE_NS0_6memory8policies11unroll_baseILi256ESt5arrayIPcLm2EE23TrivialOffsetCalculatorILi1EjESF_NS8_15LoadWithoutCastENS8_16StoreWithoutCastELi4ELi1EEEEEvT0_T1_.has_indirect_call)
	.section	.AMDGPU.csdata,"",@progbits
; Kernel info:
; codeLenInByte = 12788
; TotalNumSgprs: 39
; NumVgprs: 32
; NumAgprs: 0
; TotalNumVgprs: 32
; ScratchSize: 0
; MemoryBound: 0
; FloatMode: 240
; IeeeMode: 1
; LDSByteSize: 0 bytes/workgroup (compile time only)
; SGPRBlocks: 4
; VGPRBlocks: 3
; NumSGPRsForWavesPerEU: 39
; NumVGPRsForWavesPerEU: 32
; AccumOffset: 32
; Occupancy: 8
; WaveLimiterHint : 1
; COMPUTE_PGM_RSRC2:SCRATCH_EN: 0
; COMPUTE_PGM_RSRC2:USER_SGPR: 2
; COMPUTE_PGM_RSRC2:TRAP_HANDLER: 0
; COMPUTE_PGM_RSRC2:TGID_X_EN: 1
; COMPUTE_PGM_RSRC2:TGID_Y_EN: 0
; COMPUTE_PGM_RSRC2:TGID_Z_EN: 0
; COMPUTE_PGM_RSRC2:TIDIG_COMP_CNT: 0
; COMPUTE_PGM_RSRC3_GFX90A:ACCUM_OFFSET: 7
; COMPUTE_PGM_RSRC3_GFX90A:TG_SPLIT: 0
	.section	.text._ZN2at6native27unrolled_elementwise_kernelIZZZNS0_12_GLOBAL__N_121bessel_y1_kernel_cudaERNS_18TensorIteratorBaseEENKUlvE_clEvENKUlvE0_clEvEUlfE_St5arrayIPcLm2EELi4E23TrivialOffsetCalculatorILi1EjESC_NS0_6memory15LoadWithoutCastENSD_16StoreWithoutCastEEEviT_T0_T2_T3_T4_T5_,"axG",@progbits,_ZN2at6native27unrolled_elementwise_kernelIZZZNS0_12_GLOBAL__N_121bessel_y1_kernel_cudaERNS_18TensorIteratorBaseEENKUlvE_clEvENKUlvE0_clEvEUlfE_St5arrayIPcLm2EELi4E23TrivialOffsetCalculatorILi1EjESC_NS0_6memory15LoadWithoutCastENSD_16StoreWithoutCastEEEviT_T0_T2_T3_T4_T5_,comdat
	.globl	_ZN2at6native27unrolled_elementwise_kernelIZZZNS0_12_GLOBAL__N_121bessel_y1_kernel_cudaERNS_18TensorIteratorBaseEENKUlvE_clEvENKUlvE0_clEvEUlfE_St5arrayIPcLm2EELi4E23TrivialOffsetCalculatorILi1EjESC_NS0_6memory15LoadWithoutCastENSD_16StoreWithoutCastEEEviT_T0_T2_T3_T4_T5_ ; -- Begin function _ZN2at6native27unrolled_elementwise_kernelIZZZNS0_12_GLOBAL__N_121bessel_y1_kernel_cudaERNS_18TensorIteratorBaseEENKUlvE_clEvENKUlvE0_clEvEUlfE_St5arrayIPcLm2EELi4E23TrivialOffsetCalculatorILi1EjESC_NS0_6memory15LoadWithoutCastENSD_16StoreWithoutCastEEEviT_T0_T2_T3_T4_T5_
	.p2align	8
	.type	_ZN2at6native27unrolled_elementwise_kernelIZZZNS0_12_GLOBAL__N_121bessel_y1_kernel_cudaERNS_18TensorIteratorBaseEENKUlvE_clEvENKUlvE0_clEvEUlfE_St5arrayIPcLm2EELi4E23TrivialOffsetCalculatorILi1EjESC_NS0_6memory15LoadWithoutCastENSD_16StoreWithoutCastEEEviT_T0_T2_T3_T4_T5_,@function
_ZN2at6native27unrolled_elementwise_kernelIZZZNS0_12_GLOBAL__N_121bessel_y1_kernel_cudaERNS_18TensorIteratorBaseEENKUlvE_clEvENKUlvE0_clEvEUlfE_St5arrayIPcLm2EELi4E23TrivialOffsetCalculatorILi1EjESC_NS0_6memory15LoadWithoutCastENSD_16StoreWithoutCastEEEviT_T0_T2_T3_T4_T5_: ; @_ZN2at6native27unrolled_elementwise_kernelIZZZNS0_12_GLOBAL__N_121bessel_y1_kernel_cudaERNS_18TensorIteratorBaseEENKUlvE_clEvENKUlvE0_clEvEUlfE_St5arrayIPcLm2EELi4E23TrivialOffsetCalculatorILi1EjESC_NS0_6memory15LoadWithoutCastENSD_16StoreWithoutCastEEEviT_T0_T2_T3_T4_T5_
; %bb.0:
	s_load_dword s3, s[0:1], 0x0
	s_load_dwordx4 s[4:7], s[0:1], 0x8
	s_lshl_b32 s0, s2, 10
	s_mov_b32 s12, s2
	v_mov_b32_e32 v31, v0
	s_waitcnt lgkmcnt(0)
	s_sub_i32 s3, s3, s0
	s_getpc_b64 s[0:1]
	s_add_u32 s0, s0, _ZN2at6native25elementwise_kernel_helperILb0EZZZNS0_12_GLOBAL__N_121bessel_y1_kernel_cudaERNS_18TensorIteratorBaseEENKUlvE_clEvENKUlvE0_clEvEUlfE_NS0_6memory8policies11unroll_baseILi256ESt5arrayIPcLm2EE23TrivialOffsetCalculatorILi1EjESF_NS8_15LoadWithoutCastENS8_16StoreWithoutCastELi4ELi1EEEEEvT0_T1_@rel32@lo+4
	s_addc_u32 s1, s1, _ZN2at6native25elementwise_kernel_helperILb0EZZZNS0_12_GLOBAL__N_121bessel_y1_kernel_cudaERNS_18TensorIteratorBaseEENKUlvE_clEvENKUlvE0_clEvEUlfE_NS0_6memory8policies11unroll_baseILi256ESt5arrayIPcLm2EE23TrivialOffsetCalculatorILi1EjESF_NS8_15LoadWithoutCastENS8_16StoreWithoutCastELi4ELi1EEEEEvT0_T1_@rel32@hi+12
	v_mov_b32_e32 v0, s4
	v_mov_b32_e32 v1, s5
	;; [unrolled: 1-line block ×5, first 2 shown]
	s_mov_b32 s32, 0
	s_swappc_b64 s[30:31], s[0:1]
	s_endpgm
	.section	.rodata,"a",@progbits
	.p2align	6, 0x0
	.amdhsa_kernel _ZN2at6native27unrolled_elementwise_kernelIZZZNS0_12_GLOBAL__N_121bessel_y1_kernel_cudaERNS_18TensorIteratorBaseEENKUlvE_clEvENKUlvE0_clEvEUlfE_St5arrayIPcLm2EELi4E23TrivialOffsetCalculatorILi1EjESC_NS0_6memory15LoadWithoutCastENSD_16StoreWithoutCastEEEviT_T0_T2_T3_T4_T5_
		.amdhsa_group_segment_fixed_size 0
		.amdhsa_private_segment_fixed_size 0
		.amdhsa_kernarg_size 28
		.amdhsa_user_sgpr_count 2
		.amdhsa_user_sgpr_dispatch_ptr 0
		.amdhsa_user_sgpr_queue_ptr 0
		.amdhsa_user_sgpr_kernarg_segment_ptr 1
		.amdhsa_user_sgpr_dispatch_id 0
		.amdhsa_user_sgpr_kernarg_preload_length 0
		.amdhsa_user_sgpr_kernarg_preload_offset 0
		.amdhsa_user_sgpr_private_segment_size 0
		.amdhsa_uses_dynamic_stack 0
		.amdhsa_enable_private_segment 0
		.amdhsa_system_sgpr_workgroup_id_x 1
		.amdhsa_system_sgpr_workgroup_id_y 0
		.amdhsa_system_sgpr_workgroup_id_z 0
		.amdhsa_system_sgpr_workgroup_info 0
		.amdhsa_system_vgpr_workitem_id 0
		.amdhsa_next_free_vgpr 32
		.amdhsa_next_free_sgpr 33
		.amdhsa_accum_offset 32
		.amdhsa_reserve_vcc 1
		.amdhsa_float_round_mode_32 0
		.amdhsa_float_round_mode_16_64 0
		.amdhsa_float_denorm_mode_32 3
		.amdhsa_float_denorm_mode_16_64 3
		.amdhsa_dx10_clamp 1
		.amdhsa_ieee_mode 1
		.amdhsa_fp16_overflow 0
		.amdhsa_tg_split 0
		.amdhsa_exception_fp_ieee_invalid_op 0
		.amdhsa_exception_fp_denorm_src 0
		.amdhsa_exception_fp_ieee_div_zero 0
		.amdhsa_exception_fp_ieee_overflow 0
		.amdhsa_exception_fp_ieee_underflow 0
		.amdhsa_exception_fp_ieee_inexact 0
		.amdhsa_exception_int_div_zero 0
	.end_amdhsa_kernel
	.section	.text._ZN2at6native27unrolled_elementwise_kernelIZZZNS0_12_GLOBAL__N_121bessel_y1_kernel_cudaERNS_18TensorIteratorBaseEENKUlvE_clEvENKUlvE0_clEvEUlfE_St5arrayIPcLm2EELi4E23TrivialOffsetCalculatorILi1EjESC_NS0_6memory15LoadWithoutCastENSD_16StoreWithoutCastEEEviT_T0_T2_T3_T4_T5_,"axG",@progbits,_ZN2at6native27unrolled_elementwise_kernelIZZZNS0_12_GLOBAL__N_121bessel_y1_kernel_cudaERNS_18TensorIteratorBaseEENKUlvE_clEvENKUlvE0_clEvEUlfE_St5arrayIPcLm2EELi4E23TrivialOffsetCalculatorILi1EjESC_NS0_6memory15LoadWithoutCastENSD_16StoreWithoutCastEEEviT_T0_T2_T3_T4_T5_,comdat
.Lfunc_end18:
	.size	_ZN2at6native27unrolled_elementwise_kernelIZZZNS0_12_GLOBAL__N_121bessel_y1_kernel_cudaERNS_18TensorIteratorBaseEENKUlvE_clEvENKUlvE0_clEvEUlfE_St5arrayIPcLm2EELi4E23TrivialOffsetCalculatorILi1EjESC_NS0_6memory15LoadWithoutCastENSD_16StoreWithoutCastEEEviT_T0_T2_T3_T4_T5_, .Lfunc_end18-_ZN2at6native27unrolled_elementwise_kernelIZZZNS0_12_GLOBAL__N_121bessel_y1_kernel_cudaERNS_18TensorIteratorBaseEENKUlvE_clEvENKUlvE0_clEvEUlfE_St5arrayIPcLm2EELi4E23TrivialOffsetCalculatorILi1EjESC_NS0_6memory15LoadWithoutCastENSD_16StoreWithoutCastEEEviT_T0_T2_T3_T4_T5_
                                        ; -- End function
	.set _ZN2at6native27unrolled_elementwise_kernelIZZZNS0_12_GLOBAL__N_121bessel_y1_kernel_cudaERNS_18TensorIteratorBaseEENKUlvE_clEvENKUlvE0_clEvEUlfE_St5arrayIPcLm2EELi4E23TrivialOffsetCalculatorILi1EjESC_NS0_6memory15LoadWithoutCastENSD_16StoreWithoutCastEEEviT_T0_T2_T3_T4_T5_.num_vgpr, max(32, .L_ZN2at6native25elementwise_kernel_helperILb0EZZZNS0_12_GLOBAL__N_121bessel_y1_kernel_cudaERNS_18TensorIteratorBaseEENKUlvE_clEvENKUlvE0_clEvEUlfE_NS0_6memory8policies11unroll_baseILi256ESt5arrayIPcLm2EE23TrivialOffsetCalculatorILi1EjESF_NS8_15LoadWithoutCastENS8_16StoreWithoutCastELi4ELi1EEEEEvT0_T1_.num_vgpr)
	.set _ZN2at6native27unrolled_elementwise_kernelIZZZNS0_12_GLOBAL__N_121bessel_y1_kernel_cudaERNS_18TensorIteratorBaseEENKUlvE_clEvENKUlvE0_clEvEUlfE_St5arrayIPcLm2EELi4E23TrivialOffsetCalculatorILi1EjESC_NS0_6memory15LoadWithoutCastENSD_16StoreWithoutCastEEEviT_T0_T2_T3_T4_T5_.num_agpr, max(0, .L_ZN2at6native25elementwise_kernel_helperILb0EZZZNS0_12_GLOBAL__N_121bessel_y1_kernel_cudaERNS_18TensorIteratorBaseEENKUlvE_clEvENKUlvE0_clEvEUlfE_NS0_6memory8policies11unroll_baseILi256ESt5arrayIPcLm2EE23TrivialOffsetCalculatorILi1EjESF_NS8_15LoadWithoutCastENS8_16StoreWithoutCastELi4ELi1EEEEEvT0_T1_.num_agpr)
	.set _ZN2at6native27unrolled_elementwise_kernelIZZZNS0_12_GLOBAL__N_121bessel_y1_kernel_cudaERNS_18TensorIteratorBaseEENKUlvE_clEvENKUlvE0_clEvEUlfE_St5arrayIPcLm2EELi4E23TrivialOffsetCalculatorILi1EjESC_NS0_6memory15LoadWithoutCastENSD_16StoreWithoutCastEEEviT_T0_T2_T3_T4_T5_.numbered_sgpr, max(33, .L_ZN2at6native25elementwise_kernel_helperILb0EZZZNS0_12_GLOBAL__N_121bessel_y1_kernel_cudaERNS_18TensorIteratorBaseEENKUlvE_clEvENKUlvE0_clEvEUlfE_NS0_6memory8policies11unroll_baseILi256ESt5arrayIPcLm2EE23TrivialOffsetCalculatorILi1EjESF_NS8_15LoadWithoutCastENS8_16StoreWithoutCastELi4ELi1EEEEEvT0_T1_.numbered_sgpr)
	.set _ZN2at6native27unrolled_elementwise_kernelIZZZNS0_12_GLOBAL__N_121bessel_y1_kernel_cudaERNS_18TensorIteratorBaseEENKUlvE_clEvENKUlvE0_clEvEUlfE_St5arrayIPcLm2EELi4E23TrivialOffsetCalculatorILi1EjESC_NS0_6memory15LoadWithoutCastENSD_16StoreWithoutCastEEEviT_T0_T2_T3_T4_T5_.num_named_barrier, max(0, .L_ZN2at6native25elementwise_kernel_helperILb0EZZZNS0_12_GLOBAL__N_121bessel_y1_kernel_cudaERNS_18TensorIteratorBaseEENKUlvE_clEvENKUlvE0_clEvEUlfE_NS0_6memory8policies11unroll_baseILi256ESt5arrayIPcLm2EE23TrivialOffsetCalculatorILi1EjESF_NS8_15LoadWithoutCastENS8_16StoreWithoutCastELi4ELi1EEEEEvT0_T1_.num_named_barrier)
	.set _ZN2at6native27unrolled_elementwise_kernelIZZZNS0_12_GLOBAL__N_121bessel_y1_kernel_cudaERNS_18TensorIteratorBaseEENKUlvE_clEvENKUlvE0_clEvEUlfE_St5arrayIPcLm2EELi4E23TrivialOffsetCalculatorILi1EjESC_NS0_6memory15LoadWithoutCastENSD_16StoreWithoutCastEEEviT_T0_T2_T3_T4_T5_.private_seg_size, 0+max(.L_ZN2at6native25elementwise_kernel_helperILb0EZZZNS0_12_GLOBAL__N_121bessel_y1_kernel_cudaERNS_18TensorIteratorBaseEENKUlvE_clEvENKUlvE0_clEvEUlfE_NS0_6memory8policies11unroll_baseILi256ESt5arrayIPcLm2EE23TrivialOffsetCalculatorILi1EjESF_NS8_15LoadWithoutCastENS8_16StoreWithoutCastELi4ELi1EEEEEvT0_T1_.private_seg_size)
	.set _ZN2at6native27unrolled_elementwise_kernelIZZZNS0_12_GLOBAL__N_121bessel_y1_kernel_cudaERNS_18TensorIteratorBaseEENKUlvE_clEvENKUlvE0_clEvEUlfE_St5arrayIPcLm2EELi4E23TrivialOffsetCalculatorILi1EjESC_NS0_6memory15LoadWithoutCastENSD_16StoreWithoutCastEEEviT_T0_T2_T3_T4_T5_.uses_vcc, or(1, .L_ZN2at6native25elementwise_kernel_helperILb0EZZZNS0_12_GLOBAL__N_121bessel_y1_kernel_cudaERNS_18TensorIteratorBaseEENKUlvE_clEvENKUlvE0_clEvEUlfE_NS0_6memory8policies11unroll_baseILi256ESt5arrayIPcLm2EE23TrivialOffsetCalculatorILi1EjESF_NS8_15LoadWithoutCastENS8_16StoreWithoutCastELi4ELi1EEEEEvT0_T1_.uses_vcc)
	.set _ZN2at6native27unrolled_elementwise_kernelIZZZNS0_12_GLOBAL__N_121bessel_y1_kernel_cudaERNS_18TensorIteratorBaseEENKUlvE_clEvENKUlvE0_clEvEUlfE_St5arrayIPcLm2EELi4E23TrivialOffsetCalculatorILi1EjESC_NS0_6memory15LoadWithoutCastENSD_16StoreWithoutCastEEEviT_T0_T2_T3_T4_T5_.uses_flat_scratch, or(0, .L_ZN2at6native25elementwise_kernel_helperILb0EZZZNS0_12_GLOBAL__N_121bessel_y1_kernel_cudaERNS_18TensorIteratorBaseEENKUlvE_clEvENKUlvE0_clEvEUlfE_NS0_6memory8policies11unroll_baseILi256ESt5arrayIPcLm2EE23TrivialOffsetCalculatorILi1EjESF_NS8_15LoadWithoutCastENS8_16StoreWithoutCastELi4ELi1EEEEEvT0_T1_.uses_flat_scratch)
	.set _ZN2at6native27unrolled_elementwise_kernelIZZZNS0_12_GLOBAL__N_121bessel_y1_kernel_cudaERNS_18TensorIteratorBaseEENKUlvE_clEvENKUlvE0_clEvEUlfE_St5arrayIPcLm2EELi4E23TrivialOffsetCalculatorILi1EjESC_NS0_6memory15LoadWithoutCastENSD_16StoreWithoutCastEEEviT_T0_T2_T3_T4_T5_.has_dyn_sized_stack, or(0, .L_ZN2at6native25elementwise_kernel_helperILb0EZZZNS0_12_GLOBAL__N_121bessel_y1_kernel_cudaERNS_18TensorIteratorBaseEENKUlvE_clEvENKUlvE0_clEvEUlfE_NS0_6memory8policies11unroll_baseILi256ESt5arrayIPcLm2EE23TrivialOffsetCalculatorILi1EjESF_NS8_15LoadWithoutCastENS8_16StoreWithoutCastELi4ELi1EEEEEvT0_T1_.has_dyn_sized_stack)
	.set _ZN2at6native27unrolled_elementwise_kernelIZZZNS0_12_GLOBAL__N_121bessel_y1_kernel_cudaERNS_18TensorIteratorBaseEENKUlvE_clEvENKUlvE0_clEvEUlfE_St5arrayIPcLm2EELi4E23TrivialOffsetCalculatorILi1EjESC_NS0_6memory15LoadWithoutCastENSD_16StoreWithoutCastEEEviT_T0_T2_T3_T4_T5_.has_recursion, or(0, .L_ZN2at6native25elementwise_kernel_helperILb0EZZZNS0_12_GLOBAL__N_121bessel_y1_kernel_cudaERNS_18TensorIteratorBaseEENKUlvE_clEvENKUlvE0_clEvEUlfE_NS0_6memory8policies11unroll_baseILi256ESt5arrayIPcLm2EE23TrivialOffsetCalculatorILi1EjESF_NS8_15LoadWithoutCastENS8_16StoreWithoutCastELi4ELi1EEEEEvT0_T1_.has_recursion)
	.set _ZN2at6native27unrolled_elementwise_kernelIZZZNS0_12_GLOBAL__N_121bessel_y1_kernel_cudaERNS_18TensorIteratorBaseEENKUlvE_clEvENKUlvE0_clEvEUlfE_St5arrayIPcLm2EELi4E23TrivialOffsetCalculatorILi1EjESC_NS0_6memory15LoadWithoutCastENSD_16StoreWithoutCastEEEviT_T0_T2_T3_T4_T5_.has_indirect_call, or(0, .L_ZN2at6native25elementwise_kernel_helperILb0EZZZNS0_12_GLOBAL__N_121bessel_y1_kernel_cudaERNS_18TensorIteratorBaseEENKUlvE_clEvENKUlvE0_clEvEUlfE_NS0_6memory8policies11unroll_baseILi256ESt5arrayIPcLm2EE23TrivialOffsetCalculatorILi1EjESF_NS8_15LoadWithoutCastENS8_16StoreWithoutCastELi4ELi1EEEEEvT0_T1_.has_indirect_call)
	.section	.AMDGPU.csdata,"",@progbits
; Kernel info:
; codeLenInByte = 88
; TotalNumSgprs: 39
; NumVgprs: 32
; NumAgprs: 0
; TotalNumVgprs: 32
; ScratchSize: 0
; MemoryBound: 0
; FloatMode: 240
; IeeeMode: 1
; LDSByteSize: 0 bytes/workgroup (compile time only)
; SGPRBlocks: 4
; VGPRBlocks: 3
; NumSGPRsForWavesPerEU: 39
; NumVGPRsForWavesPerEU: 32
; AccumOffset: 32
; Occupancy: 8
; WaveLimiterHint : 0
; COMPUTE_PGM_RSRC2:SCRATCH_EN: 0
; COMPUTE_PGM_RSRC2:USER_SGPR: 2
; COMPUTE_PGM_RSRC2:TRAP_HANDLER: 0
; COMPUTE_PGM_RSRC2:TGID_X_EN: 1
; COMPUTE_PGM_RSRC2:TGID_Y_EN: 0
; COMPUTE_PGM_RSRC2:TGID_Z_EN: 0
; COMPUTE_PGM_RSRC2:TIDIG_COMP_CNT: 0
; COMPUTE_PGM_RSRC3_GFX90A:ACCUM_OFFSET: 7
; COMPUTE_PGM_RSRC3_GFX90A:TG_SPLIT: 0
	.section	.text._ZN2at6native32elementwise_kernel_manual_unrollILi128ELi4EZNS0_22gpu_kernel_impl_nocastIZZZNS0_12_GLOBAL__N_121bessel_y1_kernel_cudaERNS_18TensorIteratorBaseEENKUlvE_clEvENKUlvE0_clEvEUlfE_EEvS5_RKT_EUlibE_EEviT1_,"axG",@progbits,_ZN2at6native32elementwise_kernel_manual_unrollILi128ELi4EZNS0_22gpu_kernel_impl_nocastIZZZNS0_12_GLOBAL__N_121bessel_y1_kernel_cudaERNS_18TensorIteratorBaseEENKUlvE_clEvENKUlvE0_clEvEUlfE_EEvS5_RKT_EUlibE_EEviT1_,comdat
	.globl	_ZN2at6native32elementwise_kernel_manual_unrollILi128ELi4EZNS0_22gpu_kernel_impl_nocastIZZZNS0_12_GLOBAL__N_121bessel_y1_kernel_cudaERNS_18TensorIteratorBaseEENKUlvE_clEvENKUlvE0_clEvEUlfE_EEvS5_RKT_EUlibE_EEviT1_ ; -- Begin function _ZN2at6native32elementwise_kernel_manual_unrollILi128ELi4EZNS0_22gpu_kernel_impl_nocastIZZZNS0_12_GLOBAL__N_121bessel_y1_kernel_cudaERNS_18TensorIteratorBaseEENKUlvE_clEvENKUlvE0_clEvEUlfE_EEvS5_RKT_EUlibE_EEviT1_
	.p2align	8
	.type	_ZN2at6native32elementwise_kernel_manual_unrollILi128ELi4EZNS0_22gpu_kernel_impl_nocastIZZZNS0_12_GLOBAL__N_121bessel_y1_kernel_cudaERNS_18TensorIteratorBaseEENKUlvE_clEvENKUlvE0_clEvEUlfE_EEvS5_RKT_EUlibE_EEviT1_,@function
_ZN2at6native32elementwise_kernel_manual_unrollILi128ELi4EZNS0_22gpu_kernel_impl_nocastIZZZNS0_12_GLOBAL__N_121bessel_y1_kernel_cudaERNS_18TensorIteratorBaseEENKUlvE_clEvENKUlvE0_clEvEUlfE_EEvS5_RKT_EUlibE_EEviT1_: ; @_ZN2at6native32elementwise_kernel_manual_unrollILi128ELi4EZNS0_22gpu_kernel_impl_nocastIZZZNS0_12_GLOBAL__N_121bessel_y1_kernel_cudaERNS_18TensorIteratorBaseEENKUlvE_clEvENKUlvE0_clEvEUlfE_EEvS5_RKT_EUlibE_EEviT1_
; %bb.0:
	s_load_dword s55, s[0:1], 0x0
	s_load_dword s33, s[0:1], 0x8
	s_add_u32 s34, s0, 8
	s_addc_u32 s35, s1, 0
	v_lshl_or_b32 v4, s2, 9, v0
	v_or_b32_e32 v16, 0x180, v4
	s_waitcnt lgkmcnt(0)
	s_add_i32 s54, s33, -1
	s_cmp_gt_u32 s54, 1
	v_cmp_le_i32_e32 vcc, s55, v16
	s_cselect_b64 s[36:37], -1, 0
	s_and_saveexec_b64 s[0:1], vcc
	s_xor_b64 s[38:39], exec, s[0:1]
	s_cbranch_execz .LBB19_8
; %bb.1:
	s_load_dwordx4 s[24:27], s[34:35], 0x4
	s_load_dwordx2 s[40:41], s[34:35], 0x14
	s_load_dwordx4 s[20:23], s[34:35], 0xc4
	s_load_dwordx4 s[16:19], s[34:35], 0x148
	s_cmp_lg_u32 s33, 0
	s_cselect_b64 s[46:47], -1, 0
	s_add_u32 s44, s34, 0xc4
	s_addc_u32 s45, s35, 0
	s_min_u32 s56, s54, 15
	s_cmp_gt_u32 s33, 1
	s_cselect_b64 s[42:43], -1, 0
	v_cmp_gt_i32_e32 vcc, s55, v4
	s_and_saveexec_b64 s[48:49], vcc
	s_cbranch_execz .LBB19_15
; %bb.2:
	s_andn2_b64 vcc, exec, s[36:37]
	s_cbranch_vccnz .LBB19_23
; %bb.3:
	s_andn2_b64 vcc, exec, s[46:47]
	s_cbranch_vccnz .LBB19_139
; %bb.4:
	s_add_i32 s58, s56, 1
	s_cmp_eq_u32 s54, 2
	s_cbranch_scc1 .LBB19_141
; %bb.5:
	s_and_b32 s57, s58, 28
	s_mov_b32 s59, 0
	v_mov_b32_e32 v0, 0
	v_mov_b32_e32 v2, 0
	s_mov_b64 s[50:51], s[34:35]
	s_mov_b64 s[52:53], s[44:45]
	v_mov_b32_e32 v5, v4
.LBB19_6:                               ; =>This Inner Loop Header: Depth=1
	s_load_dwordx8 s[8:15], s[50:51], 0x4
	s_load_dwordx4 s[28:31], s[50:51], 0x24
	s_load_dwordx8 s[0:7], s[52:53], 0x0
	s_add_u32 s50, s50, 48
	s_addc_u32 s51, s51, 0
	s_waitcnt lgkmcnt(0)
	v_mul_hi_u32 v1, s9, v5
	v_add_u32_e32 v1, v5, v1
	v_lshrrev_b32_e32 v1, s10, v1
	v_mul_lo_u32 v3, v1, s8
	v_mul_hi_u32 v6, s12, v1
	v_sub_u32_e32 v3, v5, v3
	v_add_u32_e32 v5, v1, v6
	v_lshrrev_b32_e32 v5, s13, v5
	v_mul_lo_u32 v7, v5, s11
	v_mul_hi_u32 v8, s15, v5
	v_sub_u32_e32 v1, v1, v7
	v_add_u32_e32 v7, v5, v8
	v_mul_lo_u32 v6, v3, s1
	v_mul_lo_u32 v3, v3, s0
	;; [unrolled: 1-line block ×4, first 2 shown]
	v_lshrrev_b32_e32 v7, s28, v7
	v_add3_u32 v0, v3, v0, v1
	v_mul_hi_u32 v3, s30, v7
	v_add3_u32 v1, v6, v2, v8
	v_mul_lo_u32 v2, v7, s14
	v_add_u32_e32 v3, v7, v3
	v_sub_u32_e32 v2, v5, v2
	v_lshrrev_b32_e32 v5, s31, v3
	s_add_i32 s59, s59, 4
	v_mul_lo_u32 v3, v5, s29
	s_add_u32 s52, s52, 32
	v_sub_u32_e32 v3, v7, v3
	s_addc_u32 s53, s53, 0
	v_mul_lo_u32 v6, v2, s4
	v_mul_lo_u32 v2, v2, s5
	;; [unrolled: 1-line block ×4, first 2 shown]
	s_cmp_lg_u32 s57, s59
	v_add3_u32 v2, v2, v1, v3
	v_add3_u32 v0, v6, v0, v7
	s_cbranch_scc1 .LBB19_6
; %bb.7:
	v_mov_b32_e32 v1, v2
	s_branch .LBB19_142
.LBB19_8:
	s_andn2_saveexec_b64 s[0:1], s[38:39]
	s_cbranch_execz .LBB19_200
.LBB19_9:
	v_cndmask_b32_e64 v0, 0, 1, s[36:37]
	v_cmp_ne_u32_e64 s[0:1], 1, v0
	s_andn2_b64 vcc, exec, s[36:37]
	s_cbranch_vccnz .LBB19_22
; %bb.10:
	s_cmp_lg_u32 s33, 0
	s_waitcnt lgkmcnt(0)
	s_mov_b32 s26, 0
	s_cbranch_scc0 .LBB19_25
; %bb.11:
	s_min_u32 s27, s54, 15
	s_add_i32 s27, s27, 1
	s_cmp_eq_u32 s54, 2
	s_cbranch_scc1 .LBB19_26
; %bb.12:
	s_and_b32 s26, s27, 28
	s_add_u32 s2, s34, 0xc4
	s_addc_u32 s3, s35, 0
	s_mov_b32 s28, 0
	v_mov_b32_e32 v0, 0
	v_mov_b32_e32 v14, 0
	s_mov_b64 s[24:25], s[34:35]
	v_mov_b32_e32 v2, v4
.LBB19_13:                              ; =>This Inner Loop Header: Depth=1
	s_load_dwordx8 s[12:19], s[24:25], 0x4
	s_load_dwordx4 s[20:23], s[24:25], 0x24
	s_load_dwordx8 s[4:11], s[2:3], 0x0
	s_add_u32 s24, s24, 48
	s_addc_u32 s25, s25, 0
	s_waitcnt lgkmcnt(0)
	v_mul_hi_u32 v1, s13, v2
	v_add_u32_e32 v1, v2, v1
	v_lshrrev_b32_e32 v1, s14, v1
	v_mul_lo_u32 v3, v1, s12
	v_mul_hi_u32 v5, s16, v1
	v_sub_u32_e32 v2, v2, v3
	v_add_u32_e32 v3, v1, v5
	v_lshrrev_b32_e32 v3, s17, v3
	v_mul_lo_u32 v6, v3, s15
	v_mul_hi_u32 v7, s19, v3
	v_sub_u32_e32 v1, v1, v6
	v_add_u32_e32 v6, v3, v7
	v_mul_lo_u32 v5, v2, s5
	v_mul_lo_u32 v2, v2, s4
	;; [unrolled: 1-line block ×4, first 2 shown]
	v_lshrrev_b32_e32 v6, s20, v6
	v_add3_u32 v0, v2, v0, v1
	v_add3_u32 v1, v5, v14, v7
	v_mul_lo_u32 v2, v6, s18
	v_mul_hi_u32 v5, s22, v6
	v_sub_u32_e32 v2, v3, v2
	v_add_u32_e32 v3, v6, v5
	v_mul_lo_u32 v5, v2, s8
	v_mul_lo_u32 v7, v2, s9
	v_lshrrev_b32_e32 v2, s23, v3
	s_add_i32 s28, s28, 4
	v_mul_lo_u32 v3, v2, s21
	s_add_u32 s2, s2, 32
	v_sub_u32_e32 v3, v6, v3
	s_addc_u32 s3, s3, 0
	v_mul_lo_u32 v6, v3, s10
	v_mul_lo_u32 v3, v3, s11
	s_cmp_lg_u32 s26, s28
	v_add3_u32 v14, v7, v1, v3
	v_add3_u32 v0, v5, v0, v6
	s_cbranch_scc1 .LBB19_13
; %bb.14:
	v_mov_b32_e32 v1, v14
	s_and_b32 s6, s27, 3
	s_cmp_eq_u32 s6, 0
	s_cbranch_scc0 .LBB19_27
	s_branch .LBB19_29
.LBB19_15:
	s_or_b64 exec, exec, s[48:49]
	v_cmp_gt_i32_e32 vcc, s55, v4
	s_and_saveexec_b64 s[48:49], vcc
	s_cbranch_execz .LBB19_165
.LBB19_16:
	s_andn2_b64 vcc, exec, s[36:37]
	s_cbranch_vccnz .LBB19_24
; %bb.17:
	s_andn2_b64 vcc, exec, s[46:47]
	s_cbranch_vccnz .LBB19_140
; %bb.18:
	s_add_i32 s58, s56, 1
	s_cmp_eq_u32 s54, 2
	s_cbranch_scc1 .LBB19_174
; %bb.19:
	s_and_b32 s57, s58, 28
	s_mov_b32 s59, 0
	v_mov_b32_e32 v0, 0
	v_mov_b32_e32 v2, 0
	s_mov_b64 s[50:51], s[34:35]
	s_mov_b64 s[52:53], s[44:45]
	v_mov_b32_e32 v5, v4
.LBB19_20:                              ; =>This Inner Loop Header: Depth=1
	s_load_dwordx8 s[8:15], s[50:51], 0x4
	s_load_dwordx4 s[28:31], s[50:51], 0x24
	s_load_dwordx8 s[0:7], s[52:53], 0x0
	s_add_u32 s50, s50, 48
	s_addc_u32 s51, s51, 0
	s_waitcnt lgkmcnt(0)
	v_mul_hi_u32 v1, s9, v5
	v_add_u32_e32 v1, v5, v1
	v_lshrrev_b32_e32 v1, s10, v1
	v_mul_lo_u32 v3, v1, s8
	v_mul_hi_u32 v6, s12, v1
	v_sub_u32_e32 v3, v5, v3
	v_add_u32_e32 v5, v1, v6
	v_lshrrev_b32_e32 v5, s13, v5
	v_mul_lo_u32 v7, v5, s11
	v_mul_hi_u32 v8, s15, v5
	v_sub_u32_e32 v1, v1, v7
	v_add_u32_e32 v7, v5, v8
	v_mul_lo_u32 v6, v3, s1
	v_mul_lo_u32 v3, v3, s0
	;; [unrolled: 1-line block ×4, first 2 shown]
	v_lshrrev_b32_e32 v7, s28, v7
	v_add3_u32 v0, v3, v0, v1
	v_mul_hi_u32 v3, s30, v7
	v_add3_u32 v1, v6, v2, v8
	v_mul_lo_u32 v2, v7, s14
	v_add_u32_e32 v3, v7, v3
	v_sub_u32_e32 v2, v5, v2
	v_lshrrev_b32_e32 v5, s31, v3
	s_add_i32 s59, s59, 4
	v_mul_lo_u32 v3, v5, s29
	s_add_u32 s52, s52, 32
	v_sub_u32_e32 v3, v7, v3
	s_addc_u32 s53, s53, 0
	v_mul_lo_u32 v6, v2, s4
	v_mul_lo_u32 v2, v2, s5
	;; [unrolled: 1-line block ×4, first 2 shown]
	s_cmp_eq_u32 s57, s59
	v_add3_u32 v2, v2, v1, v3
	v_add3_u32 v0, v6, v0, v7
	s_cbranch_scc0 .LBB19_20
; %bb.21:
	v_mov_b32_e32 v1, v2
	s_branch .LBB19_175
.LBB19_22:
                                        ; implicit-def: $vgpr14
                                        ; implicit-def: $vgpr0
	s_branch .LBB19_30
.LBB19_23:
                                        ; implicit-def: $vgpr2
                                        ; implicit-def: $vgpr0
	s_branch .LBB19_146
.LBB19_24:
                                        ; implicit-def: $vgpr2
                                        ; implicit-def: $vgpr0
	s_branch .LBB19_179
.LBB19_25:
	v_mov_b32_e32 v14, 0
	v_mov_b32_e32 v0, 0
	s_branch .LBB19_29
.LBB19_26:
	v_mov_b32_e32 v0, 0
                                        ; implicit-def: $vgpr14
	v_mov_b32_e32 v1, v0
	v_mov_b32_e32 v2, v4
	s_and_b32 s6, s27, 3
	s_cmp_eq_u32 s6, 0
	s_cbranch_scc1 .LBB19_29
.LBB19_27:
	s_lshl_b32 s2, s26, 3
	s_add_u32 s2, s34, s2
	s_addc_u32 s3, s35, 0
	s_add_u32 s2, s2, 0xc4
	s_addc_u32 s3, s3, 0
	s_mul_i32 s4, s26, 12
	s_add_u32 s4, s34, s4
	s_addc_u32 s5, s35, 0
.LBB19_28:                              ; =>This Inner Loop Header: Depth=1
	s_load_dwordx2 s[8:9], s[4:5], 0x4
	s_load_dword s7, s[4:5], 0xc
	s_load_dwordx2 s[10:11], s[2:3], 0x0
	v_mov_b32_e32 v6, v1
	s_add_u32 s4, s4, 12
	s_waitcnt lgkmcnt(0)
	v_mul_hi_u32 v1, s9, v2
	v_add_u32_e32 v1, v2, v1
	v_lshrrev_b32_e32 v1, s7, v1
	s_addc_u32 s5, s5, 0
	v_mul_lo_u32 v3, v1, s8
	s_add_u32 s2, s2, 8
	v_sub_u32_e32 v3, v2, v3
	s_addc_u32 s3, s3, 0
	s_add_i32 s6, s6, -1
	v_mov_b32_e32 v2, v1
	v_mad_u64_u32 v[14:15], s[8:9], v3, s11, v[6:7]
	v_mad_u64_u32 v[0:1], s[8:9], v3, s10, v[0:1]
	s_cmp_lg_u32 s6, 0
	v_mov_b32_e32 v1, v14
	s_cbranch_scc1 .LBB19_28
.LBB19_29:
	s_cbranch_execnz .LBB19_32
.LBB19_30:
	s_load_dwordx4 s[4:7], s[34:35], 0x4
	s_load_dwordx2 s[2:3], s[34:35], 0xc4
	s_cmp_lt_u32 s33, 2
	s_waitcnt lgkmcnt(0)
	v_mul_hi_u32 v0, s5, v4
	v_add_u32_e32 v0, v4, v0
	v_lshrrev_b32_e32 v1, s6, v0
	v_mul_lo_u32 v0, v1, s4
	v_sub_u32_e32 v0, v4, v0
	v_mul_lo_u32 v14, v0, s3
	v_mul_lo_u32 v0, v0, s2
	s_cbranch_scc1 .LBB19_32
; %bb.31:
	s_load_dwordx4 s[4:7], s[34:35], 0x10
	s_load_dwordx2 s[2:3], s[34:35], 0xcc
	s_waitcnt lgkmcnt(0)
	v_mul_hi_u32 v2, s5, v1
	v_add_u32_e32 v2, v1, v2
	v_lshrrev_b32_e32 v2, s6, v2
	v_mul_lo_u32 v2, v2, s4
	v_sub_u32_e32 v2, v1, v2
	v_mad_u64_u32 v[0:1], s[4:5], v2, s2, v[0:1]
	v_mad_u64_u32 v[14:15], s[2:3], v2, s3, v[14:15]
.LBB19_32:
	s_and_b64 vcc, exec, s[0:1]
	v_add_u32_e32 v5, 0x80, v4
	s_cbranch_vccnz .LBB19_38
; %bb.33:
	s_cmp_lg_u32 s33, 0
	s_waitcnt lgkmcnt(0)
	s_mov_b32 s26, 0
	s_cbranch_scc0 .LBB19_39
; %bb.34:
	s_min_u32 s27, s54, 15
	s_add_i32 s27, s27, 1
	s_cmp_eq_u32 s54, 2
	s_cbranch_scc1 .LBB19_40
; %bb.35:
	s_and_b32 s26, s27, 28
	s_add_u32 s2, s34, 0xc4
	s_addc_u32 s3, s35, 0
	s_mov_b32 s28, 0
	v_mov_b32_e32 v2, 0
	v_mov_b32_e32 v12, 0
	s_mov_b64 s[24:25], s[34:35]
	v_mov_b32_e32 v6, v5
.LBB19_36:                              ; =>This Inner Loop Header: Depth=1
	s_load_dwordx8 s[12:19], s[24:25], 0x4
	s_load_dwordx4 s[20:23], s[24:25], 0x24
	s_load_dwordx8 s[4:11], s[2:3], 0x0
	s_add_u32 s24, s24, 48
	s_addc_u32 s25, s25, 0
	s_waitcnt lgkmcnt(0)
	v_mul_hi_u32 v1, s13, v6
	v_add_u32_e32 v1, v6, v1
	v_lshrrev_b32_e32 v1, s14, v1
	v_mul_lo_u32 v3, v1, s12
	v_mul_hi_u32 v7, s16, v1
	v_sub_u32_e32 v3, v6, v3
	v_add_u32_e32 v6, v1, v7
	v_lshrrev_b32_e32 v6, s17, v6
	v_mul_lo_u32 v8, v6, s15
	v_mul_hi_u32 v9, s19, v6
	v_sub_u32_e32 v1, v1, v8
	v_add_u32_e32 v8, v6, v9
	v_mul_lo_u32 v7, v3, s5
	v_mul_lo_u32 v3, v3, s4
	;; [unrolled: 1-line block ×4, first 2 shown]
	v_lshrrev_b32_e32 v8, s20, v8
	v_add3_u32 v1, v3, v2, v1
	v_add3_u32 v2, v7, v12, v9
	v_mul_lo_u32 v3, v8, s18
	v_mul_hi_u32 v7, s22, v8
	v_sub_u32_e32 v3, v6, v3
	v_add_u32_e32 v6, v8, v7
	v_lshrrev_b32_e32 v6, s23, v6
	s_add_i32 s28, s28, 4
	v_mul_lo_u32 v9, v6, s21
	s_add_u32 s2, s2, 32
	v_sub_u32_e32 v8, v8, v9
	s_addc_u32 s3, s3, 0
	v_mul_lo_u32 v7, v3, s8
	v_mul_lo_u32 v3, v3, s9
	;; [unrolled: 1-line block ×4, first 2 shown]
	s_cmp_lg_u32 s26, s28
	v_add3_u32 v12, v3, v2, v8
	v_add3_u32 v2, v7, v1, v9
	s_cbranch_scc1 .LBB19_36
; %bb.37:
	v_mov_b32_e32 v1, v12
	s_and_b32 s6, s27, 3
	s_cmp_eq_u32 s6, 0
	s_cbranch_scc0 .LBB19_41
	s_branch .LBB19_43
.LBB19_38:
                                        ; implicit-def: $vgpr12
                                        ; implicit-def: $vgpr2
	s_branch .LBB19_44
.LBB19_39:
	v_mov_b32_e32 v12, 0
	v_mov_b32_e32 v2, 0
	s_branch .LBB19_43
.LBB19_40:
	v_mov_b32_e32 v2, 0
                                        ; implicit-def: $vgpr12
	v_mov_b32_e32 v1, v2
	v_mov_b32_e32 v6, v5
	s_and_b32 s6, s27, 3
	s_cmp_eq_u32 s6, 0
	s_cbranch_scc1 .LBB19_43
.LBB19_41:
	s_lshl_b32 s2, s26, 3
	s_add_u32 s2, s34, s2
	s_addc_u32 s3, s35, 0
	s_add_u32 s2, s2, 0xc4
	s_addc_u32 s3, s3, 0
	s_mul_i32 s4, s26, 12
	s_add_u32 s4, s34, s4
	s_addc_u32 s5, s35, 0
.LBB19_42:                              ; =>This Inner Loop Header: Depth=1
	s_load_dwordx2 s[8:9], s[4:5], 0x4
	s_load_dword s7, s[4:5], 0xc
	s_load_dwordx2 s[10:11], s[2:3], 0x0
	v_mov_b32_e32 v8, v1
	s_add_u32 s4, s4, 12
	s_waitcnt lgkmcnt(0)
	v_mul_hi_u32 v1, s9, v6
	v_add_u32_e32 v1, v6, v1
	v_lshrrev_b32_e32 v1, s7, v1
	s_addc_u32 s5, s5, 0
	v_mul_lo_u32 v3, v1, s8
	s_add_u32 s2, s2, 8
	v_sub_u32_e32 v3, v6, v3
	s_addc_u32 s3, s3, 0
	s_add_i32 s6, s6, -1
	v_mad_u64_u32 v[12:13], s[8:9], v3, s11, v[8:9]
	s_cmp_lg_u32 s6, 0
	v_mov_b32_e32 v6, v1
	v_mad_u64_u32 v[2:3], s[8:9], v3, s10, v[2:3]
	v_mov_b32_e32 v1, v12
	s_cbranch_scc1 .LBB19_42
.LBB19_43:
	s_cbranch_execnz .LBB19_46
.LBB19_44:
	s_load_dwordx4 s[4:7], s[34:35], 0x4
	s_load_dwordx2 s[2:3], s[34:35], 0xc4
	s_cmp_lt_u32 s33, 2
	s_waitcnt lgkmcnt(0)
	v_mul_hi_u32 v1, s5, v5
	v_add_u32_e32 v1, v5, v1
	v_lshrrev_b32_e32 v1, s6, v1
	v_mul_lo_u32 v2, v1, s4
	v_sub_u32_e32 v2, v5, v2
	v_mul_lo_u32 v12, v2, s3
	v_mul_lo_u32 v2, v2, s2
	s_cbranch_scc1 .LBB19_46
; %bb.45:
	s_load_dwordx4 s[4:7], s[34:35], 0x10
	s_load_dwordx2 s[2:3], s[34:35], 0xcc
	s_waitcnt lgkmcnt(0)
	v_mul_hi_u32 v3, s5, v1
	v_add_u32_e32 v3, v1, v3
	v_lshrrev_b32_e32 v3, s6, v3
	v_mul_lo_u32 v3, v3, s4
	v_sub_u32_e32 v1, v1, v3
	v_mad_u64_u32 v[2:3], s[4:5], v1, s2, v[2:3]
	v_mad_u64_u32 v[12:13], s[2:3], v1, s3, v[12:13]
.LBB19_46:
	s_and_b64 vcc, exec, s[0:1]
	v_add_u32_e32 v3, 0x100, v4
	s_cbranch_vccnz .LBB19_52
; %bb.47:
	s_cmp_lg_u32 s33, 0
	s_waitcnt lgkmcnt(0)
	s_mov_b32 s26, 0
	s_cbranch_scc0 .LBB19_53
; %bb.48:
	s_min_u32 s27, s54, 15
	s_add_i32 s27, s27, 1
	s_cmp_eq_u32 s54, 2
	s_cbranch_scc1 .LBB19_54
; %bb.49:
	s_and_b32 s26, s27, 28
	s_add_u32 s2, s34, 0xc4
	s_addc_u32 s3, s35, 0
	s_mov_b32 s28, 0
	v_mov_b32_e32 v4, 0
	v_mov_b32_e32 v10, 0
	s_mov_b64 s[24:25], s[34:35]
	v_mov_b32_e32 v6, v3
.LBB19_50:                              ; =>This Inner Loop Header: Depth=1
	s_load_dwordx8 s[12:19], s[24:25], 0x4
	s_load_dwordx4 s[20:23], s[24:25], 0x24
	s_load_dwordx8 s[4:11], s[2:3], 0x0
	s_add_u32 s24, s24, 48
	s_addc_u32 s25, s25, 0
	s_waitcnt lgkmcnt(0)
	v_mul_hi_u32 v1, s13, v6
	v_add_u32_e32 v1, v6, v1
	v_lshrrev_b32_e32 v1, s14, v1
	v_mul_lo_u32 v5, v1, s12
	v_mul_hi_u32 v7, s16, v1
	v_sub_u32_e32 v5, v6, v5
	v_add_u32_e32 v6, v1, v7
	v_lshrrev_b32_e32 v6, s17, v6
	v_mul_lo_u32 v8, v6, s15
	v_mul_hi_u32 v9, s19, v6
	v_sub_u32_e32 v1, v1, v8
	v_add_u32_e32 v8, v6, v9
	v_mul_lo_u32 v7, v5, s5
	v_mul_lo_u32 v5, v5, s4
	;; [unrolled: 1-line block ×4, first 2 shown]
	v_lshrrev_b32_e32 v8, s20, v8
	v_add3_u32 v1, v5, v4, v1
	v_add3_u32 v4, v7, v10, v9
	v_mul_lo_u32 v5, v8, s18
	v_mul_hi_u32 v7, s22, v8
	v_sub_u32_e32 v5, v6, v5
	v_add_u32_e32 v6, v8, v7
	v_lshrrev_b32_e32 v6, s23, v6
	s_add_i32 s28, s28, 4
	v_mul_lo_u32 v9, v6, s21
	s_add_u32 s2, s2, 32
	v_sub_u32_e32 v8, v8, v9
	s_addc_u32 s3, s3, 0
	v_mul_lo_u32 v7, v5, s8
	v_mul_lo_u32 v5, v5, s9
	;; [unrolled: 1-line block ×4, first 2 shown]
	s_cmp_lg_u32 s26, s28
	v_add3_u32 v10, v5, v4, v8
	v_add3_u32 v4, v7, v1, v9
	s_cbranch_scc1 .LBB19_50
; %bb.51:
	v_mov_b32_e32 v1, v10
	s_and_b32 s6, s27, 3
	s_cmp_eq_u32 s6, 0
	s_cbranch_scc0 .LBB19_55
	s_branch .LBB19_57
.LBB19_52:
                                        ; implicit-def: $vgpr10
                                        ; implicit-def: $vgpr4
	s_branch .LBB19_58
.LBB19_53:
	v_mov_b32_e32 v10, 0
	v_mov_b32_e32 v4, 0
	s_branch .LBB19_57
.LBB19_54:
	v_mov_b32_e32 v4, 0
                                        ; implicit-def: $vgpr10
	v_mov_b32_e32 v1, v4
	v_mov_b32_e32 v6, v3
	s_and_b32 s6, s27, 3
	s_cmp_eq_u32 s6, 0
	s_cbranch_scc1 .LBB19_57
.LBB19_55:
	s_lshl_b32 s2, s26, 3
	s_add_u32 s2, s34, s2
	s_addc_u32 s3, s35, 0
	s_add_u32 s2, s2, 0xc4
	s_addc_u32 s3, s3, 0
	s_mul_i32 s4, s26, 12
	s_add_u32 s4, s34, s4
	s_addc_u32 s5, s35, 0
.LBB19_56:                              ; =>This Inner Loop Header: Depth=1
	s_load_dwordx2 s[8:9], s[4:5], 0x4
	s_load_dword s7, s[4:5], 0xc
	s_load_dwordx2 s[10:11], s[2:3], 0x0
	v_mov_b32_e32 v8, v1
	s_add_u32 s4, s4, 12
	s_waitcnt lgkmcnt(0)
	v_mul_hi_u32 v1, s9, v6
	v_add_u32_e32 v1, v6, v1
	v_lshrrev_b32_e32 v1, s7, v1
	s_addc_u32 s5, s5, 0
	v_mul_lo_u32 v5, v1, s8
	s_add_u32 s2, s2, 8
	v_sub_u32_e32 v5, v6, v5
	s_addc_u32 s3, s3, 0
	s_add_i32 s6, s6, -1
	v_mad_u64_u32 v[10:11], s[8:9], v5, s11, v[8:9]
	s_cmp_lg_u32 s6, 0
	v_mov_b32_e32 v6, v1
	v_mad_u64_u32 v[4:5], s[8:9], v5, s10, v[4:5]
	v_mov_b32_e32 v1, v10
	s_cbranch_scc1 .LBB19_56
.LBB19_57:
	s_cbranch_execnz .LBB19_60
.LBB19_58:
	s_load_dwordx4 s[4:7], s[34:35], 0x4
	s_load_dwordx2 s[2:3], s[34:35], 0xc4
	s_cmp_lt_u32 s33, 2
	s_waitcnt lgkmcnt(0)
	v_mul_hi_u32 v1, s5, v3
	v_add_u32_e32 v1, v3, v1
	v_lshrrev_b32_e32 v1, s6, v1
	v_mul_lo_u32 v4, v1, s4
	v_sub_u32_e32 v3, v3, v4
	v_mul_lo_u32 v10, v3, s3
	v_mul_lo_u32 v4, v3, s2
	s_cbranch_scc1 .LBB19_60
; %bb.59:
	s_load_dwordx4 s[4:7], s[34:35], 0x10
	s_load_dwordx2 s[2:3], s[34:35], 0xcc
	s_waitcnt lgkmcnt(0)
	v_mul_hi_u32 v3, s5, v1
	v_add_u32_e32 v3, v1, v3
	v_lshrrev_b32_e32 v3, s6, v3
	v_mul_lo_u32 v3, v3, s4
	v_sub_u32_e32 v1, v1, v3
	v_mad_u64_u32 v[4:5], s[4:5], v1, s2, v[4:5]
	v_mad_u64_u32 v[10:11], s[2:3], v1, s3, v[10:11]
.LBB19_60:
	s_and_b64 vcc, exec, s[0:1]
	s_cbranch_vccnz .LBB19_66
; %bb.61:
	s_cmp_lg_u32 s33, 0
	s_waitcnt lgkmcnt(0)
	s_mov_b32 s24, 0
	s_cbranch_scc0 .LBB19_67
; %bb.62:
	s_min_u32 s25, s54, 15
	s_add_i32 s25, s25, 1
	s_cmp_eq_u32 s54, 2
	s_cbranch_scc1 .LBB19_68
; %bb.63:
	s_and_b32 s24, s25, 28
	s_add_u32 s20, s34, 0xc4
	s_addc_u32 s21, s35, 0
	s_mov_b32 s26, 0
	v_mov_b32_e32 v6, 0
	v_mov_b32_e32 v8, 0
	s_mov_b64 s[22:23], s[34:35]
	v_mov_b32_e32 v3, v16
.LBB19_64:                              ; =>This Inner Loop Header: Depth=1
	s_load_dwordx8 s[8:15], s[22:23], 0x4
	s_load_dwordx4 s[16:19], s[22:23], 0x24
	s_load_dwordx8 s[0:7], s[20:21], 0x0
	s_add_u32 s22, s22, 48
	s_addc_u32 s23, s23, 0
	s_waitcnt lgkmcnt(0)
	v_mul_hi_u32 v1, s9, v3
	v_add_u32_e32 v1, v3, v1
	v_lshrrev_b32_e32 v1, s10, v1
	v_mul_lo_u32 v5, v1, s8
	v_mul_hi_u32 v7, s12, v1
	v_sub_u32_e32 v3, v3, v5
	v_add_u32_e32 v5, v1, v7
	v_lshrrev_b32_e32 v5, s13, v5
	v_mul_lo_u32 v9, v5, s11
	v_mul_hi_u32 v11, s15, v5
	v_sub_u32_e32 v1, v1, v9
	v_add_u32_e32 v9, v5, v11
	v_mul_lo_u32 v7, v3, s1
	v_mul_lo_u32 v3, v3, s0
	;; [unrolled: 1-line block ×4, first 2 shown]
	v_lshrrev_b32_e32 v9, s16, v9
	v_add3_u32 v1, v3, v6, v1
	v_add3_u32 v6, v7, v8, v11
	v_mul_lo_u32 v3, v9, s14
	v_mul_hi_u32 v7, s18, v9
	v_sub_u32_e32 v3, v5, v3
	v_add_u32_e32 v5, v9, v7
	v_mul_lo_u32 v7, v3, s4
	v_mul_lo_u32 v8, v3, s5
	v_lshrrev_b32_e32 v3, s19, v5
	s_add_i32 s26, s26, 4
	v_mul_lo_u32 v5, v3, s17
	s_add_u32 s20, s20, 32
	v_sub_u32_e32 v5, v9, v5
	s_addc_u32 s21, s21, 0
	v_mul_lo_u32 v9, v5, s6
	v_mul_lo_u32 v5, v5, s7
	s_cmp_lg_u32 s24, s26
	v_add3_u32 v8, v8, v6, v5
	v_add3_u32 v6, v7, v1, v9
	s_cbranch_scc1 .LBB19_64
; %bb.65:
	v_mov_b32_e32 v1, v8
	s_and_b32 s4, s25, 3
	s_cmp_eq_u32 s4, 0
	s_cbranch_scc0 .LBB19_69
	s_branch .LBB19_71
.LBB19_66:
                                        ; implicit-def: $vgpr8
                                        ; implicit-def: $vgpr6
	s_branch .LBB19_72
.LBB19_67:
	v_mov_b32_e32 v8, 0
	v_mov_b32_e32 v6, 0
	s_branch .LBB19_71
.LBB19_68:
	v_mov_b32_e32 v6, 0
                                        ; implicit-def: $vgpr8
	v_mov_b32_e32 v1, v6
	v_mov_b32_e32 v3, v16
	s_and_b32 s4, s25, 3
	s_cmp_eq_u32 s4, 0
	s_cbranch_scc1 .LBB19_71
.LBB19_69:
	s_lshl_b32 s0, s24, 3
	s_add_u32 s0, s34, s0
	s_addc_u32 s1, s35, 0
	s_add_u32 s0, s0, 0xc4
	s_addc_u32 s1, s1, 0
	s_mul_i32 s2, s24, 12
	s_add_u32 s2, s34, s2
	s_addc_u32 s3, s35, 0
.LBB19_70:                              ; =>This Inner Loop Header: Depth=1
	s_load_dwordx2 s[6:7], s[2:3], 0x4
	s_load_dword s5, s[2:3], 0xc
	s_load_dwordx2 s[8:9], s[0:1], 0x0
	v_mov_b32_e32 v8, v1
	s_add_u32 s2, s2, 12
	s_waitcnt lgkmcnt(0)
	v_mul_hi_u32 v1, s7, v3
	v_add_u32_e32 v1, v3, v1
	v_lshrrev_b32_e32 v1, s5, v1
	s_addc_u32 s3, s3, 0
	v_mul_lo_u32 v5, v1, s6
	s_add_u32 s0, s0, 8
	v_sub_u32_e32 v5, v3, v5
	s_addc_u32 s1, s1, 0
	s_add_i32 s4, s4, -1
	v_mad_u64_u32 v[8:9], s[6:7], v5, s9, v[8:9]
	s_cmp_lg_u32 s4, 0
	v_mov_b32_e32 v3, v1
	v_mad_u64_u32 v[6:7], s[6:7], v5, s8, v[6:7]
	v_mov_b32_e32 v1, v8
	s_cbranch_scc1 .LBB19_70
.LBB19_71:
	s_cbranch_execnz .LBB19_74
.LBB19_72:
	s_load_dwordx4 s[0:3], s[34:35], 0x4
	s_load_dwordx2 s[4:5], s[34:35], 0xc4
	s_cmp_lt_u32 s33, 2
	s_waitcnt lgkmcnt(0)
	v_mul_hi_u32 v1, s1, v16
	v_add_u32_e32 v1, v16, v1
	v_lshrrev_b32_e32 v1, s2, v1
	v_mul_lo_u32 v3, v1, s0
	v_sub_u32_e32 v3, v16, v3
	v_mul_lo_u32 v8, v3, s5
	v_mul_lo_u32 v6, v3, s4
	s_cbranch_scc1 .LBB19_74
; %bb.73:
	s_load_dwordx4 s[0:3], s[34:35], 0x10
	s_load_dwordx2 s[4:5], s[34:35], 0xcc
	s_waitcnt lgkmcnt(0)
	v_mul_hi_u32 v3, s1, v1
	v_add_u32_e32 v3, v1, v3
	v_lshrrev_b32_e32 v3, s2, v3
	v_mul_lo_u32 v3, v3, s0
	v_sub_u32_e32 v1, v1, v3
	v_mad_u64_u32 v[6:7], s[0:1], v1, s4, v[6:7]
	v_mad_u64_u32 v[8:9], s[0:1], v1, s5, v[8:9]
.LBB19_74:
	s_load_dwordx4 s[8:11], s[34:35], 0x148
	s_mov_b32 s0, 0x40a00000
                                        ; implicit-def: $vgpr1
	s_waitcnt lgkmcnt(0)
	global_load_dword v3, v14, s[10:11]
	s_waitcnt vmcnt(0)
	v_cmp_ge_f32_e32 vcc, s0, v3
	s_and_saveexec_b64 s[0:1], vcc
	s_xor_b64 s[2:3], exec, s[0:1]
	s_cbranch_execz .LBB19_80
; %bb.75:
	v_cmp_neq_f32_e32 vcc, 0, v3
	v_mov_b32_e32 v1, 0xff800000
	s_and_saveexec_b64 s[4:5], vcc
	s_cbranch_execz .LBB19_79
; %bb.76:
	v_cmp_nge_f32_e32 vcc, 0, v3
	v_mov_b32_e32 v1, 0x7fc00000
	s_and_saveexec_b64 s[6:7], vcc
	s_cbranch_execz .LBB19_78
; %bb.77:
	v_mul_f32_e32 v14, v3, v3
	v_mov_b32_e32 v1, 0x4414934d
	v_fmac_f32_e32 v1, 0, v14
	v_fmaak_f32 v1, v14, v1, 0x48660b06
	s_mov_b32 s0, 0x4e9695f3
	v_mul_f32_e32 v16, 0, v14
	v_mul_f32_e32 v17, v14, v1
	s_mov_b32 s1, 0x4c8c277d
	v_pk_add_f32 v[18:19], v[16:17], s[0:1]
	s_mov_b32 s0, 0xd316b96b
	s_mov_b32 s1, 0x508bc61d
	v_pk_fma_f32 v[18:19], v[14:15], v[18:19], s[0:1] op_sel_hi:[0,1,1]
	s_mov_b32 s0, 0x56d04aa6
	s_mov_b32 s1, 0x5461faf8
	v_pk_fma_f32 v[18:19], v[14:15], v[18:19], s[0:1] op_sel_hi:[0,1,1]
	;; [unrolled: 3-line block ×5, first 2 shown]
	v_div_scale_f32 v1, s[0:1], v19, v19, v18
	v_rcp_f32_e32 v5, v1
	s_mov_b32 s0, 0xce5691e2
	s_mov_b32 s1, 0x548a37dc
	v_fma_f32 v7, -v1, v5, 1.0
	v_fmac_f32_e32 v5, v7, v5
	v_div_scale_f32 v7, vcc, v18, v19, v18
	v_mul_f32_e32 v9, v7, v5
	v_fma_f32 v11, -v1, v9, v7
	v_fmac_f32_e32 v9, v11, v5
	v_fma_f32 v1, -v1, v9, v7
	v_mov_b32_e32 v7, 0x441b3589
	v_fmac_f32_e32 v7, 0, v14
	v_fmaak_f32 v7, v14, v7, 0x487af6d0
	v_fmaak_f32 v7, v14, v7, 0x4c9f4aa7
	;; [unrolled: 1-line block ×3, first 2 shown]
	v_mul_f32_e32 v17, v14, v7
	v_pk_add_f32 v[16:17], v[16:17], s[0:1]
	s_mov_b32 s0, 0x52d295d0
	s_mov_b32 s1, 0x58325852
	v_pk_fma_f32 v[16:17], v[14:15], v[16:17], s[0:1] op_sel_hi:[0,1,1]
	s_mov_b32 s0, 0xd6845497
	s_mov_b32 s1, 0x5b9f0600
	v_pk_fma_f32 v[16:17], v[14:15], v[16:17], s[0:1] op_sel_hi:[0,1,1]
	;; [unrolled: 3-line block ×3, first 2 shown]
	v_div_scale_f32 v7, s[0:1], v17, v17, v16
	v_rcp_f32_e32 v11, v7
	v_div_fmas_f32 v1, v1, v5, v9
	v_div_fixup_f32 v5, v1, v19, v18
	s_mov_b32 s0, 0xc244dfb3
	v_fma_f32 v1, -v7, v11, 1.0
	v_fmac_f32_e32 v11, v1, v11
	v_div_scale_f32 v1, vcc, v16, v17, v16
	v_mul_f32_e32 v9, v1, v11
	v_fma_f32 v13, -v7, v9, v1
	v_fmac_f32_e32 v9, v13, v11
	s_mov_b32 s1, 0xc16ae95a
	v_fma_f32 v1, -v7, v9, v1
	v_pk_add_f32 v[14:15], v[14:15], s[0:1] op_sel_hi:[0,1]
	s_mov_b32 s0, 0x800000
	v_div_fmas_f32 v1, v1, v11, v9
	v_cmp_gt_f32_e32 vcc, s0, v3
	s_mov_b32 s0, 0x3f317217
	v_mov_b32_e32 v13, 0x41b17218
	v_cndmask_b32_e64 v7, 0, 32, vcc
	v_ldexp_f32 v7, v3, v7
	v_log_f32_e32 v7, v7
	v_div_fixup_f32 v1, v1, v17, v16
	v_cndmask_b32_e32 v13, 0, v13, vcc
	v_mul_f32_e32 v1, v3, v1
	v_mul_f32_e32 v9, 0x3f317217, v7
	v_fma_f32 v9, v7, s0, -v9
	v_fmamk_f32 v9, v7, 0x3377d1cf, v9
	s_mov_b32 s0, 0x7f800000
	v_fmac_f32_e32 v9, 0x3f317217, v7
	v_cmp_lt_f32_e64 s[0:1], |v7|, s0
	v_mul_f32_e32 v1, v15, v1
	v_mul_f32_e32 v1, v14, v1
	v_cndmask_b32_e64 v7, v7, v9, s[0:1]
	v_div_scale_f32 v9, s[0:1], v3, v3, -1.0
	v_rcp_f32_e32 v11, v9
	v_sub_f32_e32 v7, v7, v13
	v_fma_f32 v13, -v9, v11, 1.0
	v_fmac_f32_e32 v11, v13, v11
	v_div_scale_f32 v13, vcc, -1.0, v3, -1.0
	v_mul_f32_e32 v14, v13, v11
	v_fma_f32 v15, -v9, v14, v13
	v_fmac_f32_e32 v14, v15, v11
	v_fma_f32 v9, -v9, v14, v13
	v_div_fmas_f32 v9, v9, v11, v14
	v_div_fixup_f32 v9, v9, v3, -1.0
	v_fmac_f32_e32 v9, v7, v1
	v_mul_f32_e32 v1, 0x3f22f983, v9
	v_fmac_f32_e32 v1, v3, v5
.LBB19_78:
	s_or_b64 exec, exec, s[6:7]
.LBB19_79:
	s_or_b64 exec, exec, s[4:5]
                                        ; implicit-def: $vgpr3
.LBB19_80:
	s_andn2_saveexec_b64 s[6:7], s[2:3]
	s_cbranch_execz .LBB19_90
; %bb.81:
	v_add_f32_e32 v1, 0xc016cbe4, v3
	v_and_b32_e32 v5, 0x7fffffff, v1
	s_brev_b32 s0, 18
	v_cmp_nlt_f32_e64 s[12:13], |v1|, s0
	v_lshrrev_b32_e32 v11, 23, v5
                                        ; implicit-def: $vgpr7
                                        ; implicit-def: $vgpr9
	s_and_saveexec_b64 s[0:1], s[12:13]
	s_xor_b64 s[14:15], exec, s[0:1]
	s_cbranch_execz .LBB19_83
; %bb.82:
	v_add_u32_e32 v7, 0xffffff88, v11
	v_not_b32_e32 v9, 63
	v_cmp_lt_u32_e32 vcc, 63, v7
	s_mov_b32 s4, 0xfe5163ab
	v_mov_b32_e32 v17, 0
	v_cndmask_b32_e32 v9, 0, v9, vcc
	v_add_u32_e32 v7, v9, v7
	v_not_b32_e32 v9, 31
	v_cmp_lt_u32_e64 s[0:1], 31, v7
	s_nop 1
	v_cndmask_b32_e64 v13, 0, v9, s[0:1]
	v_add_u32_e32 v7, v13, v7
	v_cmp_lt_u32_e64 s[2:3], 31, v7
	s_nop 1
	v_cndmask_b32_e64 v9, 0, v9, s[2:3]
	v_add_u32_e32 v7, v9, v7
	v_and_b32_e32 v9, 0x7fffff, v5
	v_or_b32_e32 v9, 0x800000, v9
	v_mad_u64_u32 v[14:15], s[4:5], v9, s4, 0
	v_mov_b32_e32 v16, v15
	s_mov_b32 s4, 0x3c439041
	v_mad_u64_u32 v[18:19], s[4:5], v9, s4, v[16:17]
	v_mov_b32_e32 v16, v19
	s_mov_b32 s4, 0xdb629599
	;; [unrolled: 3-line block ×6, first 2 shown]
	v_mad_u64_u32 v[16:17], s[4:5], v9, s4, v[16:17]
	v_cndmask_b32_e32 v13, v26, v22, vcc
	v_cndmask_b32_e32 v9, v16, v24, vcc
	v_cndmask_b32_e32 v16, v17, v26, vcc
	v_cndmask_b32_e64 v15, v9, v13, s[0:1]
	v_cndmask_b32_e64 v9, v16, v9, s[0:1]
	v_cndmask_b32_e32 v16, v24, v20, vcc
	v_cndmask_b32_e64 v13, v13, v16, s[0:1]
	v_cndmask_b32_e64 v9, v9, v15, s[2:3]
	;; [unrolled: 1-line block ×3, first 2 shown]
	v_sub_u32_e32 v17, 32, v7
	v_alignbit_b32 v19, v9, v15, v17
	v_cmp_eq_u32_e64 s[4:5], 0, v7
	v_cndmask_b32_e32 v14, v20, v14, vcc
	s_nop 0
	v_cndmask_b32_e64 v7, v19, v9, s[4:5]
	v_cndmask_b32_e32 v9, v22, v18, vcc
	v_cndmask_b32_e64 v16, v16, v9, s[0:1]
	v_cndmask_b32_e64 v13, v13, v16, s[2:3]
	v_alignbit_b32 v18, v15, v13, v17
	v_cndmask_b32_e64 v9, v9, v14, s[0:1]
	v_cndmask_b32_e64 v15, v18, v15, s[4:5]
	v_bfe_u32 v21, v7, 29, 1
	v_cndmask_b32_e64 v9, v16, v9, s[2:3]
	v_alignbit_b32 v18, v7, v15, 30
	v_sub_u32_e32 v22, 0, v21
	v_alignbit_b32 v14, v13, v9, v17
	v_xor_b32_e32 v18, v18, v22
	v_cndmask_b32_e64 v13, v14, v13, s[4:5]
	v_alignbit_b32 v14, v15, v13, 30
	v_ffbh_u32_e32 v15, v18
	v_min_u32_e32 v15, 32, v15
	v_alignbit_b32 v9, v13, v9, 30
	v_xor_b32_e32 v14, v14, v22
	v_sub_u32_e32 v16, 31, v15
	v_xor_b32_e32 v9, v9, v22
	v_alignbit_b32 v17, v18, v14, v16
	v_alignbit_b32 v9, v14, v9, v16
	;; [unrolled: 1-line block ×3, first 2 shown]
	v_ffbh_u32_e32 v14, v13
	v_min_u32_e32 v14, 32, v14
	v_lshrrev_b32_e32 v19, 29, v7
	v_not_b32_e32 v16, v14
	v_alignbit_b32 v9, v13, v9, v16
	v_lshlrev_b32_e32 v13, 31, v19
	v_or_b32_e32 v16, 0x33000000, v13
	v_add_lshl_u32 v14, v14, v15, 23
	v_lshrrev_b32_e32 v9, 9, v9
	v_sub_u32_e32 v14, v16, v14
	v_or_b32_e32 v13, 0.5, v13
	v_lshlrev_b32_e32 v15, 23, v15
	v_or_b32_e32 v9, v14, v9
	v_lshrrev_b32_e32 v14, 9, v17
	v_sub_u32_e32 v13, v13, v15
	v_or_b32_e32 v13, v14, v13
	s_mov_b32 s0, 0x3fc90fda
	v_mul_f32_e32 v14, 0x3fc90fda, v13
	v_fma_f32 v15, v13, s0, -v14
	v_fmamk_f32 v13, v13, 0x33a22168, v15
	v_fmac_f32_e32 v13, 0x3fc90fda, v9
	v_lshrrev_b32_e32 v7, 30, v7
	v_add_f32_e32 v9, v14, v13
	v_add_u32_e32 v7, v21, v7
	s_andn2_saveexec_b64 s[0:1], s[14:15]
	s_cbranch_execz .LBB19_85
	s_branch .LBB19_84
.LBB19_83:
	s_andn2_saveexec_b64 s[0:1], s[14:15]
	s_cbranch_execz .LBB19_85
.LBB19_84:
	s_mov_b32 s2, 0x3f22f983
	v_mul_f32_e64 v7, |v1|, s2
	v_rndne_f32_e32 v9, v7
	s_mov_b32 s2, 0xbfc90fda
	v_cvt_i32_f32_e32 v7, v9
	v_fma_f32 v13, v9, s2, |v1|
	v_fmamk_f32 v13, v9, 0xb3a22168, v13
	v_fmamk_f32 v9, v9, 0xa7c234c4, v13
.LBB19_85:
	s_or_b64 exec, exec, s[0:1]
                                        ; implicit-def: $vgpr13
                                        ; implicit-def: $vgpr14
	s_and_saveexec_b64 s[0:1], s[12:13]
	s_xor_b64 s[12:13], exec, s[0:1]
	s_cbranch_execz .LBB19_87
; %bb.86:
	v_add_u32_e32 v11, 0xffffff88, v11
	v_not_b32_e32 v13, 63
	v_cmp_lt_u32_e32 vcc, 63, v11
	s_mov_b32 s4, 0xfe5163ab
	v_mov_b32_e32 v17, 0
	v_cndmask_b32_e32 v13, 0, v13, vcc
	v_add_u32_e32 v11, v13, v11
	v_not_b32_e32 v13, 31
	v_cmp_lt_u32_e64 s[0:1], 31, v11
	s_nop 1
	v_cndmask_b32_e64 v14, 0, v13, s[0:1]
	v_add_u32_e32 v11, v14, v11
	v_cmp_lt_u32_e64 s[2:3], 31, v11
	s_nop 1
	v_cndmask_b32_e64 v13, 0, v13, s[2:3]
	v_add_u32_e32 v11, v13, v11
	v_and_b32_e32 v13, 0x7fffff, v5
	v_or_b32_e32 v13, 0x800000, v13
	v_mad_u64_u32 v[14:15], s[4:5], v13, s4, 0
	v_mov_b32_e32 v16, v15
	s_mov_b32 s4, 0x3c439041
	v_mad_u64_u32 v[18:19], s[4:5], v13, s4, v[16:17]
	v_mov_b32_e32 v16, v19
	s_mov_b32 s4, 0xdb629599
	;; [unrolled: 3-line block ×6, first 2 shown]
	v_mad_u64_u32 v[16:17], s[4:5], v13, s4, v[16:17]
	v_cndmask_b32_e32 v15, v26, v22, vcc
	v_cndmask_b32_e32 v13, v16, v24, vcc
	;; [unrolled: 1-line block ×3, first 2 shown]
	v_cndmask_b32_e64 v16, v13, v15, s[0:1]
	v_cndmask_b32_e64 v13, v17, v13, s[0:1]
	v_cndmask_b32_e32 v17, v24, v20, vcc
	v_cndmask_b32_e64 v15, v15, v17, s[0:1]
	v_cndmask_b32_e64 v13, v13, v16, s[2:3]
	;; [unrolled: 1-line block ×3, first 2 shown]
	v_sub_u32_e32 v19, 32, v11
	v_alignbit_b32 v21, v13, v16, v19
	v_cmp_eq_u32_e64 s[4:5], 0, v11
	v_cndmask_b32_e32 v14, v20, v14, vcc
	s_nop 0
	v_cndmask_b32_e64 v11, v21, v13, s[4:5]
	v_cndmask_b32_e32 v13, v22, v18, vcc
	v_cndmask_b32_e64 v17, v17, v13, s[0:1]
	v_cndmask_b32_e64 v15, v15, v17, s[2:3]
	v_alignbit_b32 v18, v16, v15, v19
	v_cndmask_b32_e64 v13, v13, v14, s[0:1]
	v_cndmask_b32_e64 v16, v18, v16, s[4:5]
	v_bfe_u32 v22, v11, 29, 1
	v_cndmask_b32_e64 v13, v17, v13, s[2:3]
	v_alignbit_b32 v18, v11, v16, 30
	v_sub_u32_e32 v23, 0, v22
	v_alignbit_b32 v14, v15, v13, v19
	v_xor_b32_e32 v18, v18, v23
	v_cndmask_b32_e64 v14, v14, v15, s[4:5]
	v_alignbit_b32 v15, v16, v14, 30
	v_ffbh_u32_e32 v16, v18
	v_min_u32_e32 v16, 32, v16
	v_alignbit_b32 v13, v14, v13, 30
	v_xor_b32_e32 v15, v15, v23
	v_sub_u32_e32 v17, 31, v16
	v_xor_b32_e32 v13, v13, v23
	v_alignbit_b32 v18, v18, v15, v17
	v_alignbit_b32 v13, v15, v13, v17
	;; [unrolled: 1-line block ×3, first 2 shown]
	v_ffbh_u32_e32 v15, v14
	v_min_u32_e32 v15, 32, v15
	v_lshrrev_b32_e32 v21, 29, v11
	v_not_b32_e32 v17, v15
	v_alignbit_b32 v13, v14, v13, v17
	v_lshlrev_b32_e32 v14, 31, v21
	v_or_b32_e32 v17, 0x33000000, v14
	v_add_lshl_u32 v15, v15, v16, 23
	v_lshrrev_b32_e32 v13, 9, v13
	v_sub_u32_e32 v15, v17, v15
	v_or_b32_e32 v14, 0.5, v14
	v_lshlrev_b32_e32 v16, 23, v16
	v_or_b32_e32 v13, v15, v13
	v_lshrrev_b32_e32 v15, 9, v18
	v_sub_u32_e32 v14, v14, v16
	v_or_b32_e32 v14, v15, v14
	s_mov_b32 s0, 0x3fc90fda
	v_mul_f32_e32 v15, 0x3fc90fda, v14
	v_fma_f32 v16, v14, s0, -v15
	v_fmamk_f32 v14, v14, 0x33a22168, v16
	v_fmac_f32_e32 v14, 0x3fc90fda, v13
	v_lshrrev_b32_e32 v11, 30, v11
	v_add_f32_e32 v14, v15, v14
	v_add_u32_e32 v13, v22, v11
	s_andn2_saveexec_b64 s[0:1], s[12:13]
	s_cbranch_execnz .LBB19_88
	s_branch .LBB19_89
.LBB19_87:
	s_andn2_saveexec_b64 s[0:1], s[12:13]
	s_cbranch_execz .LBB19_89
.LBB19_88:
	s_mov_b32 s2, 0x3f22f983
	v_mul_f32_e64 v11, |v1|, s2
	v_rndne_f32_e32 v11, v11
	s_mov_b32 s2, 0xbfc90fda
	v_cvt_i32_f32_e32 v13, v11
	v_fma_f32 v14, v11, s2, |v1|
	v_fmamk_f32 v14, v11, 0xb3a22168, v14
	v_fmamk_f32 v14, v11, 0xa7c234c4, v14
.LBB19_89:
	s_or_b64 exec, exec, s[0:1]
	s_mov_b32 s2, 0x40a00000
	v_div_scale_f32 v11, s[0:1], v3, v3, s2
	v_rcp_f32_e32 v15, v11
	v_div_scale_f32 v16, vcc, s2, v3, s2
	v_mov_b32_e32 v19, 0x42947983
	v_fma_f32 v17, -v11, v15, 1.0
	v_fmac_f32_e32 v15, v17, v15
	v_mul_f32_e32 v17, v16, v15
	v_fma_f32 v18, -v11, v17, v16
	v_fmac_f32_e32 v17, v18, v15
	v_fma_f32 v11, -v11, v17, v16
	v_div_fmas_f32 v11, v11, v15, v17
	v_div_fixup_f32 v11, v11, v3, s2
	v_mul_f32_e32 v15, v11, v11
	v_mov_b32_e32 v16, 0x3a47c962
	v_mov_b32_e32 v17, 0x3a15c4d9
	v_fmac_f32_e32 v16, 0, v15
	v_fmac_f32_e32 v17, 0, v15
	v_fmaak_f32 v16, v15, v16, 0x3d95ca45
	v_fmaak_f32 v17, v15, v17, 0x3d8cfeeb
	;; [unrolled: 1-line block ×8, first 2 shown]
	v_mov_b32_e32 v18, 0x3d513fd3
	v_fmaak_f32 v16, v15, v16, 0x40a6dd51
	v_fmaak_f32 v17, v15, v17, 0x40a6b6ea
	v_fmac_f32_e32 v18, 0, v15
	v_fma_f32 v17, v15, v17, 1.0
	v_fmaak_f32 v18, v15, v18, 0x409f6dae
	v_fmac_f32_e32 v19, 0, v15
	v_fma_f32 v16, v15, v16, 1.0
	v_fmaak_f32 v18, v15, v18, 0x4297a5cd
	v_fmaak_f32 v19, v15, v19, 0x44840e5d
	v_div_scale_f32 v20, s[0:1], v17, v17, v16
	v_fmaak_f32 v18, v15, v18, 0x43b763ca
	v_fmaak_f32 v19, v15, v19, 0x459bd349
	v_rcp_f32_e32 v21, v20
	v_fmaak_f32 v18, v15, v18, 0x4431b6ce
	v_fmaak_f32 v19, v15, v19, 0x46156947
	;; [unrolled: 1-line block ×8, first 2 shown]
	v_fma_f32 v19, -v20, v21, 1.0
	v_fmac_f32_e32 v21, v19, v21
	v_div_scale_f32 v19, vcc, v16, v17, v16
	v_mul_f32_e32 v22, v19, v21
	v_fma_f32 v23, -v20, v22, v19
	v_fmac_f32_e32 v22, v23, v21
	v_fma_f32 v19, -v20, v22, v19
	v_div_fmas_f32 v19, v19, v21, v22
	v_div_fixup_f32 v16, v19, v17, v16
	v_mul_f32_e32 v17, v9, v9
	v_mov_b32_e32 v19, 0x3c0881c4
	v_fmamk_f32 v20, v17, 0xb94c1982, v19
	v_fmaak_f32 v20, v17, v20, 0xbe2aaa9d
	v_mul_f32_e32 v20, v17, v20
	v_fmac_f32_e32 v9, v9, v20
	v_mov_b32_e32 v20, 0xbab64f3b
	v_fmamk_f32 v22, v17, 0x37d75334, v20
	v_fmaak_f32 v22, v17, v22, 0x3d2aabf7
	v_fmaak_f32 v22, v17, v22, 0xbf000004
	v_fma_f32 v17, v17, v22, 1.0
	v_and_b32_e32 v22, 1, v7
	v_lshlrev_b32_e32 v7, 30, v7
	v_cmp_eq_u32_e32 vcc, 0, v22
	v_and_b32_e32 v7, 0x80000000, v7
	v_xor_b32_e32 v5, v5, v1
	v_cndmask_b32_e32 v9, v17, v9, vcc
	v_xor_b32_e32 v5, v5, v7
	v_div_scale_f32 v7, s[0:1], v15, v15, v18
	v_xor_b32_e32 v5, v5, v9
	v_rcp_f32_e32 v9, v7
	s_movk_i32 s3, 0x1f8
	v_mov_b32_e32 v17, 0x7fc00000
	v_cmp_class_f32_e64 s[0:1], v1, s3
	v_mov_b32_e32 v21, 0xbe2aaa9d
	v_mov_b32_e32 v23, 0x3d2aabf7
	v_cndmask_b32_e64 v1, v17, v5, s[0:1]
	v_fma_f32 v5, -v7, v9, 1.0
	v_fmac_f32_e32 v9, v5, v9
	v_div_scale_f32 v5, vcc, v18, v15, v18
	v_mul_f32_e32 v22, v5, v9
	v_fma_f32 v25, -v7, v22, v5
	v_fmac_f32_e32 v22, v25, v9
	v_fma_f32 v5, -v7, v22, v5
	v_mul_f32_e32 v7, v14, v14
	v_fmac_f32_e32 v19, 0xb94c1982, v7
	v_fmac_f32_e32 v21, v7, v19
	;; [unrolled: 1-line block ×3, first 2 shown]
	v_mov_b32_e32 v24, 0xbf000004
	v_div_fmas_f32 v5, v5, v9, v22
	v_mul_f32_e32 v9, v7, v21
	v_fmac_f32_e32 v23, v7, v20
	v_fmac_f32_e32 v14, v14, v9
	;; [unrolled: 1-line block ×3, first 2 shown]
	v_and_b32_e32 v9, 1, v13
	v_fma_f32 v7, v7, v24, 1.0
	v_cmp_eq_u32_e32 vcc, 0, v9
	s_brev_b32 s2, 1
	v_lshlrev_b32_e32 v9, 30, v13
	v_cndmask_b32_e64 v7, -v14, v7, vcc
	v_bitop3_b32 v7, v9, v7, s2 bitop3:0x6c
	v_cndmask_b32_e64 v7, v17, v7, s[0:1]
	s_mov_b32 s0, 0xf800000
	v_mul_f32_e32 v9, 0x4f800000, v3
	v_cmp_gt_f32_e32 vcc, s0, v3
	v_div_fixup_f32 v5, v5, v15, v18
	v_mul_f32_e32 v5, v11, v5
	v_cndmask_b32_e32 v3, v3, v9, vcc
	v_sqrt_f32_e32 v9, v3
	v_mul_f32_e32 v5, v5, v7
	v_fmac_f32_e32 v5, v16, v1
	v_mul_f32_e32 v1, 0x3f4c422a, v5
	v_add_u32_e32 v5, -1, v9
	v_fma_f32 v7, -v5, v9, v3
	v_cmp_ge_f32_e64 s[0:1], 0, v7
	v_add_u32_e32 v7, 1, v9
	s_nop 0
	v_cndmask_b32_e64 v5, v9, v5, s[0:1]
	v_fma_f32 v9, -v7, v9, v3
	v_cmp_lt_f32_e64 s[0:1], 0, v9
	s_nop 1
	v_cndmask_b32_e64 v5, v5, v7, s[0:1]
	v_mul_f32_e32 v7, 0x37800000, v5
	v_cndmask_b32_e32 v5, v5, v7, vcc
	v_mov_b32_e32 v7, 0x260
	v_cmp_class_f32_e32 vcc, v3, v7
	s_nop 1
	v_cndmask_b32_e32 v3, v5, v3, vcc
	v_div_scale_f32 v5, s[0:1], v3, v3, v1
	v_rcp_f32_e32 v7, v5
	s_nop 0
	v_fma_f32 v9, -v5, v7, 1.0
	v_fmac_f32_e32 v7, v9, v7
	v_div_scale_f32 v9, vcc, v1, v3, v1
	v_mul_f32_e32 v11, v9, v7
	v_fma_f32 v13, -v5, v11, v9
	v_fmac_f32_e32 v11, v13, v7
	v_fma_f32 v5, -v5, v11, v9
	v_div_fmas_f32 v5, v5, v7, v11
	v_div_fixup_f32 v1, v5, v3, v1
.LBB19_90:
	s_or_b64 exec, exec, s[6:7]
	global_load_dword v5, v12, s[10:11]
	s_mov_b32 s0, 0x40a00000
                                        ; implicit-def: $vgpr3
	s_waitcnt vmcnt(0)
	v_cmp_ge_f32_e32 vcc, s0, v5
	s_and_saveexec_b64 s[0:1], vcc
	s_xor_b64 s[2:3], exec, s[0:1]
	s_cbranch_execz .LBB19_96
; %bb.91:
	v_cmp_neq_f32_e32 vcc, 0, v5
	v_mov_b32_e32 v3, 0xff800000
	s_and_saveexec_b64 s[4:5], vcc
	s_cbranch_execz .LBB19_95
; %bb.92:
	v_cmp_nge_f32_e32 vcc, 0, v5
	v_mov_b32_e32 v3, 0x7fc00000
	s_and_saveexec_b64 s[6:7], vcc
	s_cbranch_execz .LBB19_94
; %bb.93:
	v_mul_f32_e32 v12, v5, v5
	v_mov_b32_e32 v3, 0x4414934d
	v_fmac_f32_e32 v3, 0, v12
	v_fmaak_f32 v3, v12, v3, 0x48660b06
	s_mov_b32 s0, 0x4e9695f3
	v_mul_f32_e32 v14, 0, v12
	v_mul_f32_e32 v15, v12, v3
	s_mov_b32 s1, 0x4c8c277d
	v_pk_add_f32 v[16:17], v[14:15], s[0:1]
	s_mov_b32 s0, 0xd316b96b
	s_mov_b32 s1, 0x508bc61d
	v_pk_fma_f32 v[16:17], v[12:13], v[16:17], s[0:1] op_sel_hi:[0,1,1]
	s_mov_b32 s0, 0x56d04aa6
	s_mov_b32 s1, 0x5461faf8
	v_pk_fma_f32 v[16:17], v[12:13], v[16:17], s[0:1] op_sel_hi:[0,1,1]
	;; [unrolled: 3-line block ×5, first 2 shown]
	v_div_scale_f32 v3, s[0:1], v17, v17, v16
	v_rcp_f32_e32 v7, v3
	s_mov_b32 s0, 0xce5691e2
	s_mov_b32 s1, 0x548a37dc
	v_fma_f32 v9, -v3, v7, 1.0
	v_fmac_f32_e32 v7, v9, v7
	v_div_scale_f32 v9, vcc, v16, v17, v16
	v_mul_f32_e32 v11, v9, v7
	v_fma_f32 v13, -v3, v11, v9
	v_fmac_f32_e32 v11, v13, v7
	v_fma_f32 v3, -v3, v11, v9
	v_mov_b32_e32 v9, 0x441b3589
	v_fmac_f32_e32 v9, 0, v12
	v_fmaak_f32 v9, v12, v9, 0x487af6d0
	v_fmaak_f32 v9, v12, v9, 0x4c9f4aa7
	;; [unrolled: 1-line block ×3, first 2 shown]
	v_mul_f32_e32 v15, v12, v9
	v_pk_add_f32 v[14:15], v[14:15], s[0:1]
	s_mov_b32 s0, 0x52d295d0
	s_mov_b32 s1, 0x58325852
	v_pk_fma_f32 v[14:15], v[12:13], v[14:15], s[0:1] op_sel_hi:[0,1,1]
	s_mov_b32 s0, 0xd6845497
	s_mov_b32 s1, 0x5b9f0600
	v_pk_fma_f32 v[14:15], v[12:13], v[14:15], s[0:1] op_sel_hi:[0,1,1]
	;; [unrolled: 3-line block ×3, first 2 shown]
	v_div_scale_f32 v9, s[0:1], v15, v15, v14
	v_rcp_f32_e32 v13, v9
	v_div_fmas_f32 v3, v3, v7, v11
	v_div_fixup_f32 v7, v3, v17, v16
	s_mov_b32 s0, 0xc244dfb3
	v_fma_f32 v3, -v9, v13, 1.0
	v_fmac_f32_e32 v13, v3, v13
	v_div_scale_f32 v3, vcc, v14, v15, v14
	v_mul_f32_e32 v11, v3, v13
	v_fma_f32 v16, -v9, v11, v3
	v_fmac_f32_e32 v11, v16, v13
	v_fma_f32 v3, -v9, v11, v3
	s_mov_b32 s1, 0xc16ae95a
	v_div_fmas_f32 v3, v3, v13, v11
	v_pk_add_f32 v[12:13], v[12:13], s[0:1] op_sel_hi:[0,1]
	s_mov_b32 s0, 0x800000
	v_cmp_gt_f32_e32 vcc, s0, v5
	s_mov_b32 s0, 0x3f317217
	v_div_fixup_f32 v3, v3, v15, v14
	v_cndmask_b32_e64 v9, 0, 32, vcc
	v_ldexp_f32 v9, v5, v9
	v_log_f32_e32 v9, v9
	v_mul_f32_e32 v3, v5, v3
	v_mul_f32_e32 v3, v13, v3
	;; [unrolled: 1-line block ×4, first 2 shown]
	v_fma_f32 v11, v9, s0, -v11
	v_fmamk_f32 v11, v9, 0x3377d1cf, v11
	s_mov_b32 s0, 0x7f800000
	v_fmac_f32_e32 v11, 0x3f317217, v9
	v_cmp_lt_f32_e64 s[0:1], |v9|, s0
	v_mov_b32_e32 v13, 0x41b17218
	v_cndmask_b32_e32 v13, 0, v13, vcc
	v_cndmask_b32_e64 v9, v9, v11, s[0:1]
	v_div_scale_f32 v11, s[0:1], v5, v5, -1.0
	v_rcp_f32_e32 v12, v11
	v_sub_f32_e32 v9, v9, v13
	v_fma_f32 v13, -v11, v12, 1.0
	v_fmac_f32_e32 v12, v13, v12
	v_div_scale_f32 v13, vcc, -1.0, v5, -1.0
	v_mul_f32_e32 v14, v13, v12
	v_fma_f32 v15, -v11, v14, v13
	v_fmac_f32_e32 v14, v15, v12
	v_fma_f32 v11, -v11, v14, v13
	v_div_fmas_f32 v11, v11, v12, v14
	v_div_fixup_f32 v11, v11, v5, -1.0
	v_fmac_f32_e32 v11, v9, v3
	v_mul_f32_e32 v3, 0x3f22f983, v11
	v_fmac_f32_e32 v3, v5, v7
.LBB19_94:
	s_or_b64 exec, exec, s[6:7]
.LBB19_95:
	s_or_b64 exec, exec, s[4:5]
                                        ; implicit-def: $vgpr5
.LBB19_96:
	s_andn2_saveexec_b64 s[6:7], s[2:3]
	s_cbranch_execz .LBB19_106
; %bb.97:
	v_add_f32_e32 v3, 0xc016cbe4, v5
	v_and_b32_e32 v7, 0x7fffffff, v3
	s_brev_b32 s0, 18
	v_cmp_nlt_f32_e64 s[12:13], |v3|, s0
	v_lshrrev_b32_e32 v12, 23, v7
                                        ; implicit-def: $vgpr9
                                        ; implicit-def: $vgpr11
	s_and_saveexec_b64 s[0:1], s[12:13]
	s_xor_b64 s[14:15], exec, s[0:1]
	s_cbranch_execz .LBB19_99
; %bb.98:
	v_add_u32_e32 v9, 0xffffff88, v12
	v_not_b32_e32 v11, 63
	v_cmp_lt_u32_e32 vcc, 63, v9
	s_mov_b32 s4, 0xfe5163ab
	v_mov_b32_e32 v17, 0
	v_cndmask_b32_e32 v11, 0, v11, vcc
	v_add_u32_e32 v9, v11, v9
	v_not_b32_e32 v11, 31
	v_cmp_lt_u32_e64 s[0:1], 31, v9
	s_nop 1
	v_cndmask_b32_e64 v13, 0, v11, s[0:1]
	v_add_u32_e32 v9, v13, v9
	v_cmp_lt_u32_e64 s[2:3], 31, v9
	s_nop 1
	v_cndmask_b32_e64 v11, 0, v11, s[2:3]
	v_add_u32_e32 v9, v11, v9
	v_and_b32_e32 v11, 0x7fffff, v7
	v_or_b32_e32 v11, 0x800000, v11
	v_mad_u64_u32 v[14:15], s[4:5], v11, s4, 0
	v_mov_b32_e32 v16, v15
	s_mov_b32 s4, 0x3c439041
	v_mad_u64_u32 v[18:19], s[4:5], v11, s4, v[16:17]
	v_mov_b32_e32 v16, v19
	s_mov_b32 s4, 0xdb629599
	;; [unrolled: 3-line block ×6, first 2 shown]
	v_mad_u64_u32 v[16:17], s[4:5], v11, s4, v[16:17]
	v_cndmask_b32_e32 v13, v26, v22, vcc
	v_cndmask_b32_e32 v11, v16, v24, vcc
	v_cndmask_b32_e32 v16, v17, v26, vcc
	v_cndmask_b32_e64 v15, v11, v13, s[0:1]
	v_cndmask_b32_e64 v11, v16, v11, s[0:1]
	v_cndmask_b32_e32 v16, v24, v20, vcc
	v_cndmask_b32_e64 v13, v13, v16, s[0:1]
	v_cndmask_b32_e64 v11, v11, v15, s[2:3]
	;; [unrolled: 1-line block ×3, first 2 shown]
	v_sub_u32_e32 v17, 32, v9
	v_alignbit_b32 v19, v11, v15, v17
	v_cmp_eq_u32_e64 s[4:5], 0, v9
	v_cndmask_b32_e32 v14, v20, v14, vcc
	s_nop 0
	v_cndmask_b32_e64 v9, v19, v11, s[4:5]
	v_cndmask_b32_e32 v11, v22, v18, vcc
	v_cndmask_b32_e64 v16, v16, v11, s[0:1]
	v_cndmask_b32_e64 v13, v13, v16, s[2:3]
	v_alignbit_b32 v18, v15, v13, v17
	v_cndmask_b32_e64 v11, v11, v14, s[0:1]
	v_cndmask_b32_e64 v15, v18, v15, s[4:5]
	v_bfe_u32 v21, v9, 29, 1
	v_cndmask_b32_e64 v11, v16, v11, s[2:3]
	v_alignbit_b32 v18, v9, v15, 30
	v_sub_u32_e32 v22, 0, v21
	v_alignbit_b32 v14, v13, v11, v17
	v_xor_b32_e32 v18, v18, v22
	v_cndmask_b32_e64 v13, v14, v13, s[4:5]
	v_alignbit_b32 v14, v15, v13, 30
	v_ffbh_u32_e32 v15, v18
	v_min_u32_e32 v15, 32, v15
	v_alignbit_b32 v11, v13, v11, 30
	v_xor_b32_e32 v14, v14, v22
	v_sub_u32_e32 v16, 31, v15
	v_xor_b32_e32 v11, v11, v22
	v_alignbit_b32 v17, v18, v14, v16
	v_alignbit_b32 v11, v14, v11, v16
	;; [unrolled: 1-line block ×3, first 2 shown]
	v_ffbh_u32_e32 v14, v13
	v_min_u32_e32 v14, 32, v14
	v_lshrrev_b32_e32 v19, 29, v9
	v_not_b32_e32 v16, v14
	v_alignbit_b32 v11, v13, v11, v16
	v_lshlrev_b32_e32 v13, 31, v19
	v_or_b32_e32 v16, 0x33000000, v13
	v_add_lshl_u32 v14, v14, v15, 23
	v_lshrrev_b32_e32 v11, 9, v11
	v_sub_u32_e32 v14, v16, v14
	v_or_b32_e32 v13, 0.5, v13
	v_lshlrev_b32_e32 v15, 23, v15
	v_or_b32_e32 v11, v14, v11
	v_lshrrev_b32_e32 v14, 9, v17
	v_sub_u32_e32 v13, v13, v15
	v_or_b32_e32 v13, v14, v13
	s_mov_b32 s0, 0x3fc90fda
	v_mul_f32_e32 v14, 0x3fc90fda, v13
	v_fma_f32 v15, v13, s0, -v14
	v_fmamk_f32 v13, v13, 0x33a22168, v15
	v_fmac_f32_e32 v13, 0x3fc90fda, v11
	v_lshrrev_b32_e32 v9, 30, v9
	v_add_f32_e32 v11, v14, v13
	v_add_u32_e32 v9, v21, v9
	s_andn2_saveexec_b64 s[0:1], s[14:15]
	s_cbranch_execz .LBB19_101
	s_branch .LBB19_100
.LBB19_99:
	s_andn2_saveexec_b64 s[0:1], s[14:15]
	s_cbranch_execz .LBB19_101
.LBB19_100:
	s_mov_b32 s2, 0x3f22f983
	v_mul_f32_e64 v9, |v3|, s2
	v_rndne_f32_e32 v11, v9
	s_mov_b32 s2, 0xbfc90fda
	v_cvt_i32_f32_e32 v9, v11
	v_fma_f32 v13, v11, s2, |v3|
	v_fmamk_f32 v13, v11, 0xb3a22168, v13
	v_fmamk_f32 v11, v11, 0xa7c234c4, v13
.LBB19_101:
	s_or_b64 exec, exec, s[0:1]
                                        ; implicit-def: $vgpr13
                                        ; implicit-def: $vgpr14
	s_and_saveexec_b64 s[0:1], s[12:13]
	s_xor_b64 s[12:13], exec, s[0:1]
	s_cbranch_execz .LBB19_103
; %bb.102:
	v_add_u32_e32 v12, 0xffffff88, v12
	v_not_b32_e32 v13, 63
	v_cmp_lt_u32_e32 vcc, 63, v12
	s_mov_b32 s4, 0xfe5163ab
	v_mov_b32_e32 v15, 0
	v_cndmask_b32_e32 v13, 0, v13, vcc
	v_add_u32_e32 v12, v13, v12
	v_not_b32_e32 v13, 31
	v_cmp_lt_u32_e64 s[0:1], 31, v12
	s_nop 1
	v_cndmask_b32_e64 v14, 0, v13, s[0:1]
	v_add_u32_e32 v12, v14, v12
	v_cmp_lt_u32_e64 s[2:3], 31, v12
	s_nop 1
	v_cndmask_b32_e64 v13, 0, v13, s[2:3]
	v_add_u32_e32 v26, v13, v12
	v_and_b32_e32 v12, 0x7fffff, v7
	v_or_b32_e32 v27, 0x800000, v12
	v_mad_u64_u32 v[12:13], s[4:5], v27, s4, 0
	v_mov_b32_e32 v14, v13
	s_mov_b32 s4, 0x3c439041
	v_mad_u64_u32 v[16:17], s[4:5], v27, s4, v[14:15]
	v_mov_b32_e32 v14, v17
	s_mov_b32 s4, 0xdb629599
	;; [unrolled: 3-line block ×6, first 2 shown]
	v_mad_u64_u32 v[14:15], s[4:5], v27, s4, v[14:15]
	v_cndmask_b32_e32 v13, v24, v20, vcc
	v_cndmask_b32_e32 v14, v14, v22, vcc
	;; [unrolled: 1-line block ×3, first 2 shown]
	v_cndmask_b32_e64 v17, v14, v13, s[0:1]
	v_cndmask_b32_e64 v14, v15, v14, s[0:1]
	v_cndmask_b32_e32 v15, v22, v18, vcc
	v_cndmask_b32_e64 v13, v13, v15, s[0:1]
	v_cndmask_b32_e64 v14, v14, v17, s[2:3]
	;; [unrolled: 1-line block ×3, first 2 shown]
	v_sub_u32_e32 v19, 32, v26
	v_alignbit_b32 v21, v14, v17, v19
	v_cmp_eq_u32_e64 s[4:5], 0, v26
	v_cndmask_b32_e32 v12, v18, v12, vcc
	s_nop 0
	v_cndmask_b32_e64 v21, v21, v14, s[4:5]
	v_cndmask_b32_e32 v14, v20, v16, vcc
	v_cndmask_b32_e64 v15, v15, v14, s[0:1]
	v_cndmask_b32_e64 v13, v13, v15, s[2:3]
	v_alignbit_b32 v16, v17, v13, v19
	v_cndmask_b32_e64 v16, v16, v17, s[4:5]
	v_bfe_u32 v22, v21, 29, 1
	v_cndmask_b32_e64 v12, v14, v12, s[0:1]
	v_alignbit_b32 v17, v21, v16, 30
	v_sub_u32_e32 v23, 0, v22
	v_cndmask_b32_e64 v12, v15, v12, s[2:3]
	v_xor_b32_e32 v17, v17, v23
	v_alignbit_b32 v14, v13, v12, v19
	v_cndmask_b32_e64 v13, v14, v13, s[4:5]
	v_ffbh_u32_e32 v15, v17
	v_alignbit_b32 v14, v16, v13, 30
	v_min_u32_e32 v15, 32, v15
	v_alignbit_b32 v12, v13, v12, 30
	v_xor_b32_e32 v14, v14, v23
	v_sub_u32_e32 v16, 31, v15
	v_xor_b32_e32 v12, v12, v23
	v_alignbit_b32 v17, v17, v14, v16
	v_alignbit_b32 v12, v14, v12, v16
	;; [unrolled: 1-line block ×3, first 2 shown]
	v_ffbh_u32_e32 v14, v13
	v_min_u32_e32 v14, 32, v14
	v_lshrrev_b32_e32 v20, 29, v21
	v_not_b32_e32 v16, v14
	v_alignbit_b32 v12, v13, v12, v16
	v_lshlrev_b32_e32 v13, 31, v20
	v_or_b32_e32 v16, 0x33000000, v13
	v_add_lshl_u32 v14, v14, v15, 23
	v_lshrrev_b32_e32 v12, 9, v12
	v_sub_u32_e32 v14, v16, v14
	v_or_b32_e32 v13, 0.5, v13
	v_lshlrev_b32_e32 v15, 23, v15
	v_or_b32_e32 v12, v14, v12
	v_lshrrev_b32_e32 v14, 9, v17
	v_sub_u32_e32 v13, v13, v15
	v_or_b32_e32 v13, v14, v13
	s_mov_b32 s0, 0x3fc90fda
	v_mul_f32_e32 v14, 0x3fc90fda, v13
	v_fma_f32 v15, v13, s0, -v14
	v_fmamk_f32 v13, v13, 0x33a22168, v15
	v_fmac_f32_e32 v13, 0x3fc90fda, v12
	v_lshrrev_b32_e32 v12, 30, v21
	v_add_f32_e32 v14, v14, v13
	v_add_u32_e32 v13, v22, v12
	s_andn2_saveexec_b64 s[0:1], s[12:13]
	s_cbranch_execnz .LBB19_104
	s_branch .LBB19_105
.LBB19_103:
	s_andn2_saveexec_b64 s[0:1], s[12:13]
	s_cbranch_execz .LBB19_105
.LBB19_104:
	s_mov_b32 s2, 0x3f22f983
	v_mul_f32_e64 v12, |v3|, s2
	v_rndne_f32_e32 v12, v12
	s_mov_b32 s2, 0xbfc90fda
	v_cvt_i32_f32_e32 v13, v12
	v_fma_f32 v14, v12, s2, |v3|
	v_fmamk_f32 v14, v12, 0xb3a22168, v14
	v_fmamk_f32 v14, v12, 0xa7c234c4, v14
.LBB19_105:
	s_or_b64 exec, exec, s[0:1]
	s_mov_b32 s2, 0x40a00000
	v_div_scale_f32 v12, s[0:1], v5, v5, s2
	v_rcp_f32_e32 v15, v12
	v_div_scale_f32 v16, vcc, s2, v5, s2
	v_mov_b32_e32 v19, 0x42947983
	v_fma_f32 v17, -v12, v15, 1.0
	v_fmac_f32_e32 v15, v17, v15
	v_mul_f32_e32 v17, v16, v15
	v_fma_f32 v18, -v12, v17, v16
	v_fmac_f32_e32 v17, v18, v15
	v_fma_f32 v12, -v12, v17, v16
	v_div_fmas_f32 v12, v12, v15, v17
	v_div_fixup_f32 v12, v12, v5, s2
	v_mul_f32_e32 v15, v12, v12
	v_mov_b32_e32 v16, 0x3a47c962
	v_mov_b32_e32 v17, 0x3a15c4d9
	v_fmac_f32_e32 v16, 0, v15
	v_fmac_f32_e32 v17, 0, v15
	v_fmaak_f32 v16, v15, v16, 0x3d95ca45
	v_fmaak_f32 v17, v15, v17, 0x3d8cfeeb
	;; [unrolled: 1-line block ×8, first 2 shown]
	v_mov_b32_e32 v18, 0x3d513fd3
	v_fmaak_f32 v16, v15, v16, 0x40a6dd51
	v_fmaak_f32 v17, v15, v17, 0x40a6b6ea
	v_fmac_f32_e32 v18, 0, v15
	v_fma_f32 v17, v15, v17, 1.0
	v_fmaak_f32 v18, v15, v18, 0x409f6dae
	v_fmac_f32_e32 v19, 0, v15
	v_fma_f32 v16, v15, v16, 1.0
	v_fmaak_f32 v18, v15, v18, 0x4297a5cd
	v_fmaak_f32 v19, v15, v19, 0x44840e5d
	v_div_scale_f32 v20, s[0:1], v17, v17, v16
	v_fmaak_f32 v18, v15, v18, 0x43b763ca
	v_fmaak_f32 v19, v15, v19, 0x459bd349
	v_rcp_f32_e32 v21, v20
	v_fmaak_f32 v18, v15, v18, 0x4431b6ce
	v_fmaak_f32 v19, v15, v19, 0x46156947
	;; [unrolled: 1-line block ×8, first 2 shown]
	v_fma_f32 v19, -v20, v21, 1.0
	v_fmac_f32_e32 v21, v19, v21
	v_div_scale_f32 v19, vcc, v16, v17, v16
	v_mul_f32_e32 v22, v19, v21
	v_fma_f32 v23, -v20, v22, v19
	v_fmac_f32_e32 v22, v23, v21
	v_fma_f32 v19, -v20, v22, v19
	v_div_fmas_f32 v19, v19, v21, v22
	v_div_fixup_f32 v16, v19, v17, v16
	v_mul_f32_e32 v17, v11, v11
	v_mov_b32_e32 v19, 0x3c0881c4
	v_fmamk_f32 v20, v17, 0xb94c1982, v19
	v_fmaak_f32 v20, v17, v20, 0xbe2aaa9d
	v_mul_f32_e32 v20, v17, v20
	v_fmac_f32_e32 v11, v11, v20
	v_mov_b32_e32 v20, 0xbab64f3b
	v_fmamk_f32 v22, v17, 0x37d75334, v20
	v_fmaak_f32 v22, v17, v22, 0x3d2aabf7
	v_fmaak_f32 v22, v17, v22, 0xbf000004
	v_fma_f32 v17, v17, v22, 1.0
	v_and_b32_e32 v22, 1, v9
	v_lshlrev_b32_e32 v9, 30, v9
	v_cmp_eq_u32_e32 vcc, 0, v22
	v_and_b32_e32 v9, 0x80000000, v9
	v_xor_b32_e32 v7, v7, v3
	v_cndmask_b32_e32 v11, v17, v11, vcc
	v_xor_b32_e32 v7, v7, v9
	v_div_scale_f32 v9, s[0:1], v15, v15, v18
	v_xor_b32_e32 v7, v7, v11
	v_rcp_f32_e32 v11, v9
	s_movk_i32 s3, 0x1f8
	v_mov_b32_e32 v17, 0x7fc00000
	v_cmp_class_f32_e64 s[0:1], v3, s3
	v_mov_b32_e32 v21, 0xbe2aaa9d
	v_mov_b32_e32 v23, 0x3d2aabf7
	v_cndmask_b32_e64 v3, v17, v7, s[0:1]
	v_fma_f32 v7, -v9, v11, 1.0
	v_fmac_f32_e32 v11, v7, v11
	v_div_scale_f32 v7, vcc, v18, v15, v18
	v_mul_f32_e32 v22, v7, v11
	v_fma_f32 v25, -v9, v22, v7
	v_fmac_f32_e32 v22, v25, v11
	v_fma_f32 v7, -v9, v22, v7
	v_mul_f32_e32 v9, v14, v14
	v_fmac_f32_e32 v19, 0xb94c1982, v9
	v_fmac_f32_e32 v21, v9, v19
	;; [unrolled: 1-line block ×3, first 2 shown]
	v_mov_b32_e32 v24, 0xbf000004
	v_div_fmas_f32 v7, v7, v11, v22
	v_mul_f32_e32 v11, v9, v21
	v_fmac_f32_e32 v23, v9, v20
	v_fmac_f32_e32 v14, v14, v11
	;; [unrolled: 1-line block ×3, first 2 shown]
	v_and_b32_e32 v11, 1, v13
	v_fma_f32 v9, v9, v24, 1.0
	v_cmp_eq_u32_e32 vcc, 0, v11
	s_brev_b32 s2, 1
	v_lshlrev_b32_e32 v11, 30, v13
	v_cndmask_b32_e64 v9, -v14, v9, vcc
	v_bitop3_b32 v9, v11, v9, s2 bitop3:0x6c
	v_cndmask_b32_e64 v9, v17, v9, s[0:1]
	s_mov_b32 s0, 0xf800000
	v_mul_f32_e32 v11, 0x4f800000, v5
	v_cmp_gt_f32_e32 vcc, s0, v5
	v_div_fixup_f32 v7, v7, v15, v18
	v_mul_f32_e32 v7, v12, v7
	v_cndmask_b32_e32 v5, v5, v11, vcc
	v_sqrt_f32_e32 v11, v5
	v_mul_f32_e32 v7, v7, v9
	v_fmac_f32_e32 v7, v16, v3
	v_mul_f32_e32 v3, 0x3f4c422a, v7
	v_add_u32_e32 v7, -1, v11
	v_fma_f32 v9, -v7, v11, v5
	v_cmp_ge_f32_e64 s[0:1], 0, v9
	v_add_u32_e32 v9, 1, v11
	s_nop 0
	v_cndmask_b32_e64 v7, v11, v7, s[0:1]
	v_fma_f32 v11, -v9, v11, v5
	v_cmp_lt_f32_e64 s[0:1], 0, v11
	s_nop 1
	v_cndmask_b32_e64 v7, v7, v9, s[0:1]
	v_mul_f32_e32 v9, 0x37800000, v7
	v_cndmask_b32_e32 v7, v7, v9, vcc
	v_mov_b32_e32 v9, 0x260
	v_cmp_class_f32_e32 vcc, v5, v9
	s_nop 1
	v_cndmask_b32_e32 v5, v7, v5, vcc
	v_div_scale_f32 v7, s[0:1], v5, v5, v3
	v_rcp_f32_e32 v9, v7
	s_nop 0
	v_fma_f32 v11, -v7, v9, 1.0
	v_fmac_f32_e32 v9, v11, v9
	v_div_scale_f32 v11, vcc, v3, v5, v3
	v_mul_f32_e32 v12, v11, v9
	v_fma_f32 v13, -v7, v12, v11
	v_fmac_f32_e32 v12, v13, v9
	v_fma_f32 v7, -v7, v12, v11
	v_div_fmas_f32 v7, v7, v9, v12
	v_div_fixup_f32 v3, v7, v5, v3
.LBB19_106:
	s_or_b64 exec, exec, s[6:7]
	global_load_dword v7, v10, s[10:11]
	s_mov_b32 s0, 0x40a00000
                                        ; implicit-def: $vgpr5
	s_waitcnt vmcnt(0)
	v_cmp_ge_f32_e32 vcc, s0, v7
	s_and_saveexec_b64 s[0:1], vcc
	s_xor_b64 s[2:3], exec, s[0:1]
	s_cbranch_execz .LBB19_112
; %bb.107:
	v_cmp_neq_f32_e32 vcc, 0, v7
	v_mov_b32_e32 v5, 0xff800000
	s_and_saveexec_b64 s[4:5], vcc
	s_cbranch_execz .LBB19_111
; %bb.108:
	v_cmp_nge_f32_e32 vcc, 0, v7
	v_mov_b32_e32 v5, 0x7fc00000
	s_and_saveexec_b64 s[6:7], vcc
	s_cbranch_execz .LBB19_110
; %bb.109:
	v_mul_f32_e32 v10, v7, v7
	v_mov_b32_e32 v5, 0x4414934d
	v_fmac_f32_e32 v5, 0, v10
	v_fmaak_f32 v5, v10, v5, 0x48660b06
	s_mov_b32 s0, 0x4e9695f3
	v_mul_f32_e32 v12, 0, v10
	v_mul_f32_e32 v13, v10, v5
	s_mov_b32 s1, 0x4c8c277d
	v_pk_add_f32 v[14:15], v[12:13], s[0:1]
	s_mov_b32 s0, 0xd316b96b
	s_mov_b32 s1, 0x508bc61d
	v_pk_fma_f32 v[14:15], v[10:11], v[14:15], s[0:1] op_sel_hi:[0,1,1]
	s_mov_b32 s0, 0x56d04aa6
	s_mov_b32 s1, 0x5461faf8
	v_pk_fma_f32 v[14:15], v[10:11], v[14:15], s[0:1] op_sel_hi:[0,1,1]
	;; [unrolled: 3-line block ×5, first 2 shown]
	v_div_scale_f32 v5, s[0:1], v15, v15, v14
	v_rcp_f32_e32 v9, v5
	s_mov_b32 s0, 0xce5691e2
	s_mov_b32 s1, 0x548a37dc
	v_fma_f32 v11, -v5, v9, 1.0
	v_fmac_f32_e32 v9, v11, v9
	v_div_scale_f32 v11, vcc, v14, v15, v14
	v_mul_f32_e32 v16, v11, v9
	v_fma_f32 v13, -v5, v16, v11
	v_fmac_f32_e32 v16, v13, v9
	v_fma_f32 v5, -v5, v16, v11
	v_mov_b32_e32 v11, 0x441b3589
	v_fmac_f32_e32 v11, 0, v10
	v_fmaak_f32 v11, v10, v11, 0x487af6d0
	v_fmaak_f32 v11, v10, v11, 0x4c9f4aa7
	;; [unrolled: 1-line block ×3, first 2 shown]
	v_mul_f32_e32 v13, v10, v11
	v_pk_add_f32 v[12:13], v[12:13], s[0:1]
	s_mov_b32 s0, 0x52d295d0
	s_mov_b32 s1, 0x58325852
	v_pk_fma_f32 v[12:13], v[10:11], v[12:13], s[0:1] op_sel_hi:[0,1,1]
	s_mov_b32 s0, 0xd6845497
	s_mov_b32 s1, 0x5b9f0600
	v_pk_fma_f32 v[12:13], v[10:11], v[12:13], s[0:1] op_sel_hi:[0,1,1]
	;; [unrolled: 3-line block ×3, first 2 shown]
	v_div_scale_f32 v11, s[0:1], v13, v13, v12
	v_rcp_f32_e32 v17, v11
	v_div_fmas_f32 v5, v5, v9, v16
	v_div_fixup_f32 v9, v5, v15, v14
	s_mov_b32 s0, 0xc244dfb3
	v_fma_f32 v5, -v11, v17, 1.0
	v_fmac_f32_e32 v17, v5, v17
	v_div_scale_f32 v5, vcc, v12, v13, v12
	v_mul_f32_e32 v14, v5, v17
	v_fma_f32 v15, -v11, v14, v5
	v_fmac_f32_e32 v14, v15, v17
	s_mov_b32 s1, 0xc16ae95a
	v_fma_f32 v5, -v11, v14, v5
	v_pk_add_f32 v[10:11], v[10:11], s[0:1] op_sel_hi:[0,1]
	s_mov_b32 s0, 0x800000
	v_div_fmas_f32 v5, v5, v17, v14
	v_cmp_gt_f32_e32 vcc, s0, v7
	v_div_fixup_f32 v5, v5, v13, v12
	v_mul_f32_e32 v5, v7, v5
	v_cndmask_b32_e64 v12, 0, 32, vcc
	v_ldexp_f32 v12, v7, v12
	v_log_f32_e32 v12, v12
	v_mul_f32_e32 v5, v11, v5
	v_mul_f32_e32 v5, v10, v5
	s_mov_b32 s0, 0x3f317217
	v_mul_f32_e32 v10, 0x3f317217, v12
	v_fma_f32 v10, v12, s0, -v10
	v_fmamk_f32 v10, v12, 0x3377d1cf, v10
	s_mov_b32 s0, 0x7f800000
	v_fmac_f32_e32 v10, 0x3f317217, v12
	v_cmp_lt_f32_e64 s[0:1], |v12|, s0
	v_mov_b32_e32 v13, 0x41b17218
	v_cndmask_b32_e32 v13, 0, v13, vcc
	v_cndmask_b32_e64 v10, v12, v10, s[0:1]
	v_div_scale_f32 v11, s[0:1], v7, v7, -1.0
	v_rcp_f32_e32 v12, v11
	v_sub_f32_e32 v10, v10, v13
	v_fma_f32 v13, -v11, v12, 1.0
	v_fmac_f32_e32 v12, v13, v12
	v_div_scale_f32 v13, vcc, -1.0, v7, -1.0
	v_mul_f32_e32 v14, v13, v12
	v_fma_f32 v15, -v11, v14, v13
	v_fmac_f32_e32 v14, v15, v12
	v_fma_f32 v11, -v11, v14, v13
	v_div_fmas_f32 v11, v11, v12, v14
	v_div_fixup_f32 v11, v11, v7, -1.0
	v_fmac_f32_e32 v11, v10, v5
	v_mul_f32_e32 v5, 0x3f22f983, v11
	v_fmac_f32_e32 v5, v7, v9
.LBB19_110:
	s_or_b64 exec, exec, s[6:7]
.LBB19_111:
	s_or_b64 exec, exec, s[4:5]
                                        ; implicit-def: $vgpr7
.LBB19_112:
	s_andn2_saveexec_b64 s[6:7], s[2:3]
	s_cbranch_execz .LBB19_122
; %bb.113:
	v_add_f32_e32 v5, 0xc016cbe4, v7
	v_and_b32_e32 v9, 0x7fffffff, v5
	s_brev_b32 s0, 18
	v_cmp_nlt_f32_e64 s[12:13], |v5|, s0
	v_lshrrev_b32_e32 v12, 23, v9
                                        ; implicit-def: $vgpr10
                                        ; implicit-def: $vgpr11
	s_and_saveexec_b64 s[0:1], s[12:13]
	s_xor_b64 s[14:15], exec, s[0:1]
	s_cbranch_execz .LBB19_115
; %bb.114:
	v_add_u32_e32 v10, 0xffffff88, v12
	v_not_b32_e32 v11, 63
	v_cmp_lt_u32_e32 vcc, 63, v10
	s_mov_b32 s4, 0xfe5163ab
	v_mov_b32_e32 v15, 0
	v_cndmask_b32_e32 v11, 0, v11, vcc
	v_add_u32_e32 v10, v11, v10
	v_not_b32_e32 v11, 31
	v_cmp_lt_u32_e64 s[0:1], 31, v10
	s_nop 1
	v_cndmask_b32_e64 v13, 0, v11, s[0:1]
	v_add_u32_e32 v10, v13, v10
	v_cmp_lt_u32_e64 s[2:3], 31, v10
	s_nop 1
	v_cndmask_b32_e64 v11, 0, v11, s[2:3]
	v_add_u32_e32 v13, v11, v10
	v_and_b32_e32 v10, 0x7fffff, v9
	v_or_b32_e32 v26, 0x800000, v10
	v_mad_u64_u32 v[10:11], s[4:5], v26, s4, 0
	v_mov_b32_e32 v14, v11
	s_mov_b32 s4, 0x3c439041
	v_mad_u64_u32 v[16:17], s[4:5], v26, s4, v[14:15]
	v_mov_b32_e32 v14, v17
	s_mov_b32 s4, 0xdb629599
	;; [unrolled: 3-line block ×6, first 2 shown]
	v_mad_u64_u32 v[14:15], s[4:5], v26, s4, v[14:15]
	v_cndmask_b32_e32 v11, v24, v20, vcc
	v_cndmask_b32_e32 v14, v14, v22, vcc
	;; [unrolled: 1-line block ×3, first 2 shown]
	v_cndmask_b32_e64 v17, v14, v11, s[0:1]
	v_cndmask_b32_e64 v14, v15, v14, s[0:1]
	v_cndmask_b32_e32 v15, v22, v18, vcc
	v_cndmask_b32_e64 v11, v11, v15, s[0:1]
	v_cndmask_b32_e64 v14, v14, v17, s[2:3]
	;; [unrolled: 1-line block ×3, first 2 shown]
	v_sub_u32_e32 v19, 32, v13
	v_alignbit_b32 v21, v14, v17, v19
	v_cmp_eq_u32_e64 s[4:5], 0, v13
	v_cndmask_b32_e32 v10, v18, v10, vcc
	s_nop 0
	v_cndmask_b32_e64 v13, v21, v14, s[4:5]
	v_cndmask_b32_e32 v14, v20, v16, vcc
	v_cndmask_b32_e64 v15, v15, v14, s[0:1]
	v_cndmask_b32_e64 v11, v11, v15, s[2:3]
	v_alignbit_b32 v16, v17, v11, v19
	v_cndmask_b32_e64 v16, v16, v17, s[4:5]
	v_bfe_u32 v21, v13, 29, 1
	v_cndmask_b32_e64 v10, v14, v10, s[0:1]
	v_alignbit_b32 v17, v13, v16, 30
	v_sub_u32_e32 v22, 0, v21
	v_cndmask_b32_e64 v10, v15, v10, s[2:3]
	v_xor_b32_e32 v17, v17, v22
	v_alignbit_b32 v14, v11, v10, v19
	v_cndmask_b32_e64 v11, v14, v11, s[4:5]
	v_ffbh_u32_e32 v15, v17
	v_alignbit_b32 v14, v16, v11, 30
	v_min_u32_e32 v15, 32, v15
	v_alignbit_b32 v10, v11, v10, 30
	v_xor_b32_e32 v14, v14, v22
	v_sub_u32_e32 v16, 31, v15
	v_xor_b32_e32 v10, v10, v22
	v_alignbit_b32 v17, v17, v14, v16
	v_alignbit_b32 v10, v14, v10, v16
	;; [unrolled: 1-line block ×3, first 2 shown]
	v_ffbh_u32_e32 v14, v11
	v_min_u32_e32 v14, 32, v14
	v_lshrrev_b32_e32 v20, 29, v13
	v_not_b32_e32 v16, v14
	v_alignbit_b32 v10, v11, v10, v16
	v_lshlrev_b32_e32 v11, 31, v20
	v_or_b32_e32 v16, 0x33000000, v11
	v_add_lshl_u32 v14, v14, v15, 23
	v_lshrrev_b32_e32 v10, 9, v10
	v_sub_u32_e32 v14, v16, v14
	v_or_b32_e32 v11, 0.5, v11
	v_lshlrev_b32_e32 v15, 23, v15
	v_or_b32_e32 v10, v14, v10
	v_lshrrev_b32_e32 v14, 9, v17
	v_sub_u32_e32 v11, v11, v15
	v_or_b32_e32 v11, v14, v11
	s_mov_b32 s0, 0x3fc90fda
	v_mul_f32_e32 v14, 0x3fc90fda, v11
	v_fma_f32 v15, v11, s0, -v14
	v_fmamk_f32 v11, v11, 0x33a22168, v15
	v_fmac_f32_e32 v11, 0x3fc90fda, v10
	v_lshrrev_b32_e32 v10, 30, v13
	v_add_f32_e32 v11, v14, v11
	v_add_u32_e32 v10, v21, v10
	s_andn2_saveexec_b64 s[0:1], s[14:15]
	s_cbranch_execz .LBB19_117
	s_branch .LBB19_116
.LBB19_115:
	s_andn2_saveexec_b64 s[0:1], s[14:15]
	s_cbranch_execz .LBB19_117
.LBB19_116:
	s_mov_b32 s2, 0x3f22f983
	v_mul_f32_e64 v10, |v5|, s2
	v_rndne_f32_e32 v11, v10
	s_mov_b32 s2, 0xbfc90fda
	v_cvt_i32_f32_e32 v10, v11
	v_fma_f32 v13, v11, s2, |v5|
	v_fmamk_f32 v13, v11, 0xb3a22168, v13
	v_fmamk_f32 v11, v11, 0xa7c234c4, v13
.LBB19_117:
	s_or_b64 exec, exec, s[0:1]
                                        ; implicit-def: $vgpr13
                                        ; implicit-def: $vgpr14
	s_and_saveexec_b64 s[0:1], s[12:13]
	s_xor_b64 s[12:13], exec, s[0:1]
	s_cbranch_execz .LBB19_119
; %bb.118:
	v_add_u32_e32 v12, 0xffffff88, v12
	v_not_b32_e32 v13, 63
	v_cmp_lt_u32_e32 vcc, 63, v12
	s_mov_b32 s4, 0xfe5163ab
	v_mov_b32_e32 v15, 0
	v_cndmask_b32_e32 v13, 0, v13, vcc
	v_add_u32_e32 v12, v13, v12
	v_not_b32_e32 v13, 31
	v_cmp_lt_u32_e64 s[0:1], 31, v12
	s_nop 1
	v_cndmask_b32_e64 v14, 0, v13, s[0:1]
	v_add_u32_e32 v12, v14, v12
	v_cmp_lt_u32_e64 s[2:3], 31, v12
	s_nop 1
	v_cndmask_b32_e64 v13, 0, v13, s[2:3]
	v_add_u32_e32 v26, v13, v12
	v_and_b32_e32 v12, 0x7fffff, v9
	v_or_b32_e32 v27, 0x800000, v12
	v_mad_u64_u32 v[12:13], s[4:5], v27, s4, 0
	v_mov_b32_e32 v14, v13
	s_mov_b32 s4, 0x3c439041
	v_mad_u64_u32 v[16:17], s[4:5], v27, s4, v[14:15]
	v_mov_b32_e32 v14, v17
	s_mov_b32 s4, 0xdb629599
	;; [unrolled: 3-line block ×6, first 2 shown]
	v_mad_u64_u32 v[14:15], s[4:5], v27, s4, v[14:15]
	v_cndmask_b32_e32 v13, v24, v20, vcc
	v_cndmask_b32_e32 v14, v14, v22, vcc
	;; [unrolled: 1-line block ×3, first 2 shown]
	v_cndmask_b32_e64 v17, v14, v13, s[0:1]
	v_cndmask_b32_e64 v14, v15, v14, s[0:1]
	v_cndmask_b32_e32 v15, v22, v18, vcc
	v_cndmask_b32_e64 v13, v13, v15, s[0:1]
	v_cndmask_b32_e64 v14, v14, v17, s[2:3]
	v_cndmask_b32_e64 v17, v17, v13, s[2:3]
	v_sub_u32_e32 v19, 32, v26
	v_alignbit_b32 v21, v14, v17, v19
	v_cmp_eq_u32_e64 s[4:5], 0, v26
	v_cndmask_b32_e32 v12, v18, v12, vcc
	s_nop 0
	v_cndmask_b32_e64 v21, v21, v14, s[4:5]
	v_cndmask_b32_e32 v14, v20, v16, vcc
	v_cndmask_b32_e64 v15, v15, v14, s[0:1]
	v_cndmask_b32_e64 v13, v13, v15, s[2:3]
	v_alignbit_b32 v16, v17, v13, v19
	v_cndmask_b32_e64 v16, v16, v17, s[4:5]
	v_bfe_u32 v22, v21, 29, 1
	v_cndmask_b32_e64 v12, v14, v12, s[0:1]
	v_alignbit_b32 v17, v21, v16, 30
	v_sub_u32_e32 v23, 0, v22
	v_cndmask_b32_e64 v12, v15, v12, s[2:3]
	v_xor_b32_e32 v17, v17, v23
	v_alignbit_b32 v14, v13, v12, v19
	v_cndmask_b32_e64 v13, v14, v13, s[4:5]
	v_ffbh_u32_e32 v15, v17
	v_alignbit_b32 v14, v16, v13, 30
	v_min_u32_e32 v15, 32, v15
	v_alignbit_b32 v12, v13, v12, 30
	v_xor_b32_e32 v14, v14, v23
	v_sub_u32_e32 v16, 31, v15
	v_xor_b32_e32 v12, v12, v23
	v_alignbit_b32 v17, v17, v14, v16
	v_alignbit_b32 v12, v14, v12, v16
	v_alignbit_b32 v13, v17, v12, 9
	v_ffbh_u32_e32 v14, v13
	v_min_u32_e32 v14, 32, v14
	v_lshrrev_b32_e32 v20, 29, v21
	v_not_b32_e32 v16, v14
	v_alignbit_b32 v12, v13, v12, v16
	v_lshlrev_b32_e32 v13, 31, v20
	v_or_b32_e32 v16, 0x33000000, v13
	v_add_lshl_u32 v14, v14, v15, 23
	v_lshrrev_b32_e32 v12, 9, v12
	v_sub_u32_e32 v14, v16, v14
	v_or_b32_e32 v13, 0.5, v13
	v_lshlrev_b32_e32 v15, 23, v15
	v_or_b32_e32 v12, v14, v12
	v_lshrrev_b32_e32 v14, 9, v17
	v_sub_u32_e32 v13, v13, v15
	v_or_b32_e32 v13, v14, v13
	s_mov_b32 s0, 0x3fc90fda
	v_mul_f32_e32 v14, 0x3fc90fda, v13
	v_fma_f32 v15, v13, s0, -v14
	v_fmamk_f32 v13, v13, 0x33a22168, v15
	v_fmac_f32_e32 v13, 0x3fc90fda, v12
	v_lshrrev_b32_e32 v12, 30, v21
	v_add_f32_e32 v14, v14, v13
	v_add_u32_e32 v13, v22, v12
	s_andn2_saveexec_b64 s[0:1], s[12:13]
	s_cbranch_execnz .LBB19_120
	s_branch .LBB19_121
.LBB19_119:
	s_andn2_saveexec_b64 s[0:1], s[12:13]
	s_cbranch_execz .LBB19_121
.LBB19_120:
	s_mov_b32 s2, 0x3f22f983
	v_mul_f32_e64 v12, |v5|, s2
	v_rndne_f32_e32 v12, v12
	s_mov_b32 s2, 0xbfc90fda
	v_cvt_i32_f32_e32 v13, v12
	v_fma_f32 v14, v12, s2, |v5|
	v_fmamk_f32 v14, v12, 0xb3a22168, v14
	v_fmamk_f32 v14, v12, 0xa7c234c4, v14
.LBB19_121:
	s_or_b64 exec, exec, s[0:1]
	s_mov_b32 s2, 0x40a00000
	v_div_scale_f32 v12, s[0:1], v7, v7, s2
	v_rcp_f32_e32 v15, v12
	v_div_scale_f32 v16, vcc, s2, v7, s2
	v_mov_b32_e32 v19, 0x42947983
	v_fma_f32 v17, -v12, v15, 1.0
	v_fmac_f32_e32 v15, v17, v15
	v_mul_f32_e32 v17, v16, v15
	v_fma_f32 v18, -v12, v17, v16
	v_fmac_f32_e32 v17, v18, v15
	v_fma_f32 v12, -v12, v17, v16
	v_div_fmas_f32 v12, v12, v15, v17
	v_div_fixup_f32 v12, v12, v7, s2
	v_mul_f32_e32 v15, v12, v12
	v_mov_b32_e32 v16, 0x3a47c962
	v_mov_b32_e32 v17, 0x3a15c4d9
	v_fmac_f32_e32 v16, 0, v15
	v_fmac_f32_e32 v17, 0, v15
	v_fmaak_f32 v16, v15, v16, 0x3d95ca45
	v_fmaak_f32 v17, v15, v17, 0x3d8cfeeb
	;; [unrolled: 1-line block ×8, first 2 shown]
	v_mov_b32_e32 v18, 0x3d513fd3
	v_fmaak_f32 v16, v15, v16, 0x40a6dd51
	v_fmaak_f32 v17, v15, v17, 0x40a6b6ea
	v_fmac_f32_e32 v18, 0, v15
	v_fma_f32 v17, v15, v17, 1.0
	v_fmaak_f32 v18, v15, v18, 0x409f6dae
	v_fmac_f32_e32 v19, 0, v15
	v_fma_f32 v16, v15, v16, 1.0
	v_fmaak_f32 v18, v15, v18, 0x4297a5cd
	v_fmaak_f32 v19, v15, v19, 0x44840e5d
	v_div_scale_f32 v20, s[0:1], v17, v17, v16
	v_fmaak_f32 v18, v15, v18, 0x43b763ca
	v_fmaak_f32 v19, v15, v19, 0x459bd349
	v_rcp_f32_e32 v21, v20
	v_fmaak_f32 v18, v15, v18, 0x4431b6ce
	v_fmaak_f32 v19, v15, v19, 0x46156947
	;; [unrolled: 1-line block ×8, first 2 shown]
	v_fma_f32 v19, -v20, v21, 1.0
	v_fmac_f32_e32 v21, v19, v21
	v_div_scale_f32 v19, vcc, v16, v17, v16
	v_mul_f32_e32 v22, v19, v21
	v_fma_f32 v23, -v20, v22, v19
	v_fmac_f32_e32 v22, v23, v21
	v_fma_f32 v19, -v20, v22, v19
	v_div_fmas_f32 v19, v19, v21, v22
	v_div_fixup_f32 v16, v19, v17, v16
	v_mul_f32_e32 v17, v11, v11
	v_mov_b32_e32 v19, 0x3c0881c4
	v_fmamk_f32 v20, v17, 0xb94c1982, v19
	v_fmaak_f32 v20, v17, v20, 0xbe2aaa9d
	v_mul_f32_e32 v20, v17, v20
	v_fmac_f32_e32 v11, v11, v20
	v_mov_b32_e32 v20, 0xbab64f3b
	v_fmamk_f32 v22, v17, 0x37d75334, v20
	v_fmaak_f32 v22, v17, v22, 0x3d2aabf7
	v_fmaak_f32 v22, v17, v22, 0xbf000004
	v_fma_f32 v17, v17, v22, 1.0
	v_and_b32_e32 v22, 1, v10
	v_lshlrev_b32_e32 v10, 30, v10
	v_cmp_eq_u32_e32 vcc, 0, v22
	v_and_b32_e32 v10, 0x80000000, v10
	v_xor_b32_e32 v9, v9, v5
	v_cndmask_b32_e32 v11, v17, v11, vcc
	v_xor_b32_e32 v9, v9, v10
	v_div_scale_f32 v10, s[0:1], v15, v15, v18
	v_xor_b32_e32 v9, v9, v11
	v_rcp_f32_e32 v11, v10
	s_movk_i32 s3, 0x1f8
	v_mov_b32_e32 v17, 0x7fc00000
	v_cmp_class_f32_e64 s[0:1], v5, s3
	v_mov_b32_e32 v21, 0xbe2aaa9d
	v_mov_b32_e32 v23, 0x3d2aabf7
	v_cndmask_b32_e64 v5, v17, v9, s[0:1]
	v_fma_f32 v9, -v10, v11, 1.0
	v_fmac_f32_e32 v11, v9, v11
	v_div_scale_f32 v9, vcc, v18, v15, v18
	v_mul_f32_e32 v22, v9, v11
	v_fma_f32 v25, -v10, v22, v9
	v_fmac_f32_e32 v22, v25, v11
	v_fma_f32 v9, -v10, v22, v9
	v_mul_f32_e32 v10, v14, v14
	v_fmac_f32_e32 v19, 0xb94c1982, v10
	v_fmac_f32_e32 v21, v10, v19
	;; [unrolled: 1-line block ×3, first 2 shown]
	v_mov_b32_e32 v24, 0xbf000004
	v_div_fmas_f32 v9, v9, v11, v22
	v_mul_f32_e32 v11, v10, v21
	v_fmac_f32_e32 v23, v10, v20
	v_fmac_f32_e32 v14, v14, v11
	v_fmac_f32_e32 v24, v10, v23
	v_and_b32_e32 v11, 1, v13
	v_fma_f32 v10, v10, v24, 1.0
	v_cmp_eq_u32_e32 vcc, 0, v11
	s_brev_b32 s2, 1
	v_lshlrev_b32_e32 v11, 30, v13
	v_cndmask_b32_e64 v10, -v14, v10, vcc
	v_bitop3_b32 v10, v11, v10, s2 bitop3:0x6c
	v_cndmask_b32_e64 v10, v17, v10, s[0:1]
	s_mov_b32 s0, 0xf800000
	v_mul_f32_e32 v11, 0x4f800000, v7
	v_cmp_gt_f32_e32 vcc, s0, v7
	v_div_fixup_f32 v9, v9, v15, v18
	v_mul_f32_e32 v9, v12, v9
	v_cndmask_b32_e32 v7, v7, v11, vcc
	v_sqrt_f32_e32 v11, v7
	v_mul_f32_e32 v9, v9, v10
	v_fmac_f32_e32 v9, v16, v5
	v_mul_f32_e32 v5, 0x3f4c422a, v9
	v_add_u32_e32 v9, -1, v11
	v_fma_f32 v10, -v9, v11, v7
	v_cmp_ge_f32_e64 s[0:1], 0, v10
	v_add_u32_e32 v10, 1, v11
	s_nop 0
	v_cndmask_b32_e64 v9, v11, v9, s[0:1]
	v_fma_f32 v11, -v10, v11, v7
	v_cmp_lt_f32_e64 s[0:1], 0, v11
	s_nop 1
	v_cndmask_b32_e64 v9, v9, v10, s[0:1]
	v_mul_f32_e32 v10, 0x37800000, v9
	v_cndmask_b32_e32 v9, v9, v10, vcc
	v_mov_b32_e32 v10, 0x260
	v_cmp_class_f32_e32 vcc, v7, v10
	s_nop 1
	v_cndmask_b32_e32 v7, v9, v7, vcc
	v_div_scale_f32 v9, s[0:1], v7, v7, v5
	v_rcp_f32_e32 v10, v9
	s_nop 0
	v_fma_f32 v11, -v9, v10, 1.0
	v_fmac_f32_e32 v10, v11, v10
	v_div_scale_f32 v11, vcc, v5, v7, v5
	v_mul_f32_e32 v12, v11, v10
	v_fma_f32 v13, -v9, v12, v11
	v_fmac_f32_e32 v12, v13, v10
	v_fma_f32 v9, -v9, v12, v11
	v_div_fmas_f32 v9, v9, v10, v12
	v_div_fixup_f32 v5, v9, v7, v5
.LBB19_122:
	s_or_b64 exec, exec, s[6:7]
	global_load_dword v7, v8, s[10:11]
	s_mov_b32 s0, 0x40a00000
                                        ; implicit-def: $vgpr8
	s_waitcnt vmcnt(0)
	v_cmp_ge_f32_e32 vcc, s0, v7
	s_and_saveexec_b64 s[0:1], vcc
	s_xor_b64 s[2:3], exec, s[0:1]
	s_cbranch_execz .LBB19_128
; %bb.123:
	v_cmp_neq_f32_e32 vcc, 0, v7
	v_mov_b32_e32 v8, 0xff800000
	s_and_saveexec_b64 s[4:5], vcc
	s_cbranch_execz .LBB19_127
; %bb.124:
	v_cmp_nge_f32_e32 vcc, 0, v7
	v_mov_b32_e32 v8, 0x7fc00000
	s_and_saveexec_b64 s[6:7], vcc
	s_cbranch_execz .LBB19_126
; %bb.125:
	v_mul_f32_e32 v8, v7, v7
	v_mov_b32_e32 v9, 0x4414934d
	v_fmac_f32_e32 v9, 0, v8
	v_fmaak_f32 v9, v8, v9, 0x48660b06
	s_mov_b32 s0, 0x4e9695f3
	v_mul_f32_e32 v10, 0, v8
	v_mul_f32_e32 v11, v8, v9
	s_mov_b32 s1, 0x4c8c277d
	v_pk_add_f32 v[12:13], v[10:11], s[0:1]
	s_mov_b32 s0, 0xd316b96b
	s_mov_b32 s1, 0x508bc61d
	v_pk_fma_f32 v[12:13], v[8:9], v[12:13], s[0:1] op_sel_hi:[0,1,1]
	s_mov_b32 s0, 0x56d04aa6
	s_mov_b32 s1, 0x5461faf8
	v_pk_fma_f32 v[12:13], v[8:9], v[12:13], s[0:1] op_sel_hi:[0,1,1]
	;; [unrolled: 3-line block ×5, first 2 shown]
	v_div_scale_f32 v9, s[0:1], v13, v13, v12
	v_rcp_f32_e32 v14, v9
	s_mov_b32 s0, 0xce5691e2
	s_mov_b32 s1, 0x548a37dc
	v_fma_f32 v11, -v9, v14, 1.0
	v_fmac_f32_e32 v14, v11, v14
	v_div_scale_f32 v11, vcc, v12, v13, v12
	v_mul_f32_e32 v15, v11, v14
	v_fma_f32 v16, -v9, v15, v11
	v_fmac_f32_e32 v15, v16, v14
	v_fma_f32 v9, -v9, v15, v11
	v_mov_b32_e32 v11, 0x441b3589
	v_fmac_f32_e32 v11, 0, v8
	v_fmaak_f32 v11, v8, v11, 0x487af6d0
	v_fmaak_f32 v11, v8, v11, 0x4c9f4aa7
	;; [unrolled: 1-line block ×3, first 2 shown]
	v_mul_f32_e32 v11, v8, v11
	v_pk_add_f32 v[10:11], v[10:11], s[0:1]
	s_mov_b32 s0, 0x52d295d0
	s_mov_b32 s1, 0x58325852
	v_pk_fma_f32 v[10:11], v[8:9], v[10:11], s[0:1] op_sel_hi:[0,1,1]
	s_mov_b32 s0, 0xd6845497
	s_mov_b32 s1, 0x5b9f0600
	v_pk_fma_f32 v[10:11], v[8:9], v[10:11], s[0:1] op_sel_hi:[0,1,1]
	;; [unrolled: 3-line block ×3, first 2 shown]
	v_div_scale_f32 v16, s[0:1], v11, v11, v10
	v_rcp_f32_e32 v17, v16
	v_div_fmas_f32 v9, v9, v14, v15
	v_div_fixup_f32 v12, v9, v13, v12
	s_mov_b32 s0, 0xc244dfb3
	v_fma_f32 v9, -v16, v17, 1.0
	v_fmac_f32_e32 v17, v9, v17
	v_div_scale_f32 v9, vcc, v10, v11, v10
	v_mul_f32_e32 v13, v9, v17
	v_fma_f32 v14, -v16, v13, v9
	v_fmac_f32_e32 v13, v14, v17
	v_fma_f32 v9, -v16, v13, v9
	v_div_fmas_f32 v9, v9, v17, v13
	v_div_fixup_f32 v9, v9, v11, v10
	s_mov_b32 s1, 0xc16ae95a
	v_mul_f32_e32 v10, v7, v9
	v_pk_add_f32 v[8:9], v[8:9], s[0:1] op_sel_hi:[0,1]
	s_mov_b32 s0, 0x800000
	v_cmp_gt_f32_e32 vcc, s0, v7
	v_mul_f32_e32 v9, v9, v10
	v_mul_f32_e32 v8, v8, v9
	v_cndmask_b32_e64 v11, 0, 32, vcc
	v_ldexp_f32 v11, v7, v11
	v_log_f32_e32 v11, v11
	s_mov_b32 s0, 0x3f317217
	v_mov_b32_e32 v13, 0x41b17218
	v_cndmask_b32_e32 v13, 0, v13, vcc
	v_mul_f32_e32 v9, 0x3f317217, v11
	v_fma_f32 v9, v11, s0, -v9
	v_fmamk_f32 v9, v11, 0x3377d1cf, v9
	s_mov_b32 s0, 0x7f800000
	v_fmac_f32_e32 v9, 0x3f317217, v11
	v_cmp_lt_f32_e64 s[0:1], |v11|, s0
	s_nop 1
	v_cndmask_b32_e64 v9, v11, v9, s[0:1]
	v_div_scale_f32 v10, s[0:1], v7, v7, -1.0
	v_rcp_f32_e32 v11, v10
	v_sub_f32_e32 v9, v9, v13
	v_fma_f32 v13, -v10, v11, 1.0
	v_fmac_f32_e32 v11, v13, v11
	v_div_scale_f32 v13, vcc, -1.0, v7, -1.0
	v_mul_f32_e32 v14, v13, v11
	v_fma_f32 v15, -v10, v14, v13
	v_fmac_f32_e32 v14, v15, v11
	v_fma_f32 v10, -v10, v14, v13
	v_div_fmas_f32 v10, v10, v11, v14
	v_div_fixup_f32 v10, v10, v7, -1.0
	v_fmac_f32_e32 v10, v9, v8
	v_mul_f32_e32 v8, 0x3f22f983, v10
	v_fmac_f32_e32 v8, v7, v12
.LBB19_126:
	s_or_b64 exec, exec, s[6:7]
.LBB19_127:
	s_or_b64 exec, exec, s[4:5]
                                        ; implicit-def: $vgpr7
.LBB19_128:
	s_andn2_saveexec_b64 s[6:7], s[2:3]
	s_cbranch_execz .LBB19_138
; %bb.129:
	v_add_f32_e32 v8, 0xc016cbe4, v7
	v_and_b32_e32 v9, 0x7fffffff, v8
	s_brev_b32 s0, 18
	v_cmp_nlt_f32_e64 s[10:11], |v8|, s0
	v_lshrrev_b32_e32 v12, 23, v9
                                        ; implicit-def: $vgpr10
                                        ; implicit-def: $vgpr11
	s_and_saveexec_b64 s[0:1], s[10:11]
	s_xor_b64 s[12:13], exec, s[0:1]
	s_cbranch_execz .LBB19_131
; %bb.130:
	v_add_u32_e32 v10, 0xffffff88, v12
	v_not_b32_e32 v11, 63
	v_cmp_lt_u32_e32 vcc, 63, v10
	s_mov_b32 s4, 0xfe5163ab
	v_mov_b32_e32 v15, 0
	v_cndmask_b32_e32 v11, 0, v11, vcc
	v_add_u32_e32 v10, v11, v10
	v_not_b32_e32 v11, 31
	v_cmp_lt_u32_e64 s[0:1], 31, v10
	s_nop 1
	v_cndmask_b32_e64 v13, 0, v11, s[0:1]
	v_add_u32_e32 v10, v13, v10
	v_cmp_lt_u32_e64 s[2:3], 31, v10
	s_nop 1
	v_cndmask_b32_e64 v11, 0, v11, s[2:3]
	v_add_u32_e32 v13, v11, v10
	v_and_b32_e32 v10, 0x7fffff, v9
	v_or_b32_e32 v26, 0x800000, v10
	v_mad_u64_u32 v[10:11], s[4:5], v26, s4, 0
	v_mov_b32_e32 v14, v11
	s_mov_b32 s4, 0x3c439041
	v_mad_u64_u32 v[16:17], s[4:5], v26, s4, v[14:15]
	v_mov_b32_e32 v14, v17
	s_mov_b32 s4, 0xdb629599
	;; [unrolled: 3-line block ×6, first 2 shown]
	v_mad_u64_u32 v[14:15], s[4:5], v26, s4, v[14:15]
	v_cndmask_b32_e32 v11, v24, v20, vcc
	v_cndmask_b32_e32 v14, v14, v22, vcc
	;; [unrolled: 1-line block ×3, first 2 shown]
	v_cndmask_b32_e64 v17, v14, v11, s[0:1]
	v_cndmask_b32_e64 v14, v15, v14, s[0:1]
	v_cndmask_b32_e32 v15, v22, v18, vcc
	v_cndmask_b32_e64 v11, v11, v15, s[0:1]
	v_cndmask_b32_e64 v14, v14, v17, s[2:3]
	;; [unrolled: 1-line block ×3, first 2 shown]
	v_sub_u32_e32 v19, 32, v13
	v_alignbit_b32 v21, v14, v17, v19
	v_cmp_eq_u32_e64 s[4:5], 0, v13
	v_cndmask_b32_e32 v10, v18, v10, vcc
	s_nop 0
	v_cndmask_b32_e64 v13, v21, v14, s[4:5]
	v_cndmask_b32_e32 v14, v20, v16, vcc
	v_cndmask_b32_e64 v15, v15, v14, s[0:1]
	v_cndmask_b32_e64 v11, v11, v15, s[2:3]
	v_alignbit_b32 v16, v17, v11, v19
	v_cndmask_b32_e64 v16, v16, v17, s[4:5]
	v_bfe_u32 v21, v13, 29, 1
	v_cndmask_b32_e64 v10, v14, v10, s[0:1]
	v_alignbit_b32 v17, v13, v16, 30
	v_sub_u32_e32 v22, 0, v21
	v_cndmask_b32_e64 v10, v15, v10, s[2:3]
	v_xor_b32_e32 v17, v17, v22
	v_alignbit_b32 v14, v11, v10, v19
	v_cndmask_b32_e64 v11, v14, v11, s[4:5]
	v_ffbh_u32_e32 v15, v17
	v_alignbit_b32 v14, v16, v11, 30
	v_min_u32_e32 v15, 32, v15
	v_alignbit_b32 v10, v11, v10, 30
	v_xor_b32_e32 v14, v14, v22
	v_sub_u32_e32 v16, 31, v15
	v_xor_b32_e32 v10, v10, v22
	v_alignbit_b32 v17, v17, v14, v16
	v_alignbit_b32 v10, v14, v10, v16
	;; [unrolled: 1-line block ×3, first 2 shown]
	v_ffbh_u32_e32 v14, v11
	v_min_u32_e32 v14, 32, v14
	v_lshrrev_b32_e32 v20, 29, v13
	v_not_b32_e32 v16, v14
	v_alignbit_b32 v10, v11, v10, v16
	v_lshlrev_b32_e32 v11, 31, v20
	v_or_b32_e32 v16, 0x33000000, v11
	v_add_lshl_u32 v14, v14, v15, 23
	v_lshrrev_b32_e32 v10, 9, v10
	v_sub_u32_e32 v14, v16, v14
	v_or_b32_e32 v11, 0.5, v11
	v_lshlrev_b32_e32 v15, 23, v15
	v_or_b32_e32 v10, v14, v10
	v_lshrrev_b32_e32 v14, 9, v17
	v_sub_u32_e32 v11, v11, v15
	v_or_b32_e32 v11, v14, v11
	s_mov_b32 s0, 0x3fc90fda
	v_mul_f32_e32 v14, 0x3fc90fda, v11
	v_fma_f32 v15, v11, s0, -v14
	v_fmamk_f32 v11, v11, 0x33a22168, v15
	v_fmac_f32_e32 v11, 0x3fc90fda, v10
	v_lshrrev_b32_e32 v10, 30, v13
	v_add_f32_e32 v11, v14, v11
	v_add_u32_e32 v10, v21, v10
	s_andn2_saveexec_b64 s[0:1], s[12:13]
	s_cbranch_execz .LBB19_133
	s_branch .LBB19_132
.LBB19_131:
	s_andn2_saveexec_b64 s[0:1], s[12:13]
	s_cbranch_execz .LBB19_133
.LBB19_132:
	s_mov_b32 s2, 0x3f22f983
	v_mul_f32_e64 v10, |v8|, s2
	v_rndne_f32_e32 v11, v10
	s_mov_b32 s2, 0xbfc90fda
	v_cvt_i32_f32_e32 v10, v11
	v_fma_f32 v13, v11, s2, |v8|
	v_fmamk_f32 v13, v11, 0xb3a22168, v13
	v_fmamk_f32 v11, v11, 0xa7c234c4, v13
.LBB19_133:
	s_or_b64 exec, exec, s[0:1]
                                        ; implicit-def: $vgpr13
                                        ; implicit-def: $vgpr14
	s_and_saveexec_b64 s[0:1], s[10:11]
	s_xor_b64 s[10:11], exec, s[0:1]
	s_cbranch_execz .LBB19_135
; %bb.134:
	v_add_u32_e32 v12, 0xffffff88, v12
	v_not_b32_e32 v13, 63
	v_cmp_lt_u32_e32 vcc, 63, v12
	s_mov_b32 s4, 0xfe5163ab
	v_mov_b32_e32 v15, 0
	v_cndmask_b32_e32 v13, 0, v13, vcc
	v_add_u32_e32 v12, v13, v12
	v_not_b32_e32 v13, 31
	v_cmp_lt_u32_e64 s[0:1], 31, v12
	s_nop 1
	v_cndmask_b32_e64 v14, 0, v13, s[0:1]
	v_add_u32_e32 v12, v14, v12
	v_cmp_lt_u32_e64 s[2:3], 31, v12
	s_nop 1
	v_cndmask_b32_e64 v13, 0, v13, s[2:3]
	v_add_u32_e32 v26, v13, v12
	v_and_b32_e32 v12, 0x7fffff, v9
	v_or_b32_e32 v27, 0x800000, v12
	v_mad_u64_u32 v[12:13], s[4:5], v27, s4, 0
	v_mov_b32_e32 v14, v13
	s_mov_b32 s4, 0x3c439041
	v_mad_u64_u32 v[16:17], s[4:5], v27, s4, v[14:15]
	v_mov_b32_e32 v14, v17
	s_mov_b32 s4, 0xdb629599
	;; [unrolled: 3-line block ×6, first 2 shown]
	v_mad_u64_u32 v[14:15], s[4:5], v27, s4, v[14:15]
	v_cndmask_b32_e32 v13, v24, v20, vcc
	v_cndmask_b32_e32 v14, v14, v22, vcc
	;; [unrolled: 1-line block ×3, first 2 shown]
	v_cndmask_b32_e64 v17, v14, v13, s[0:1]
	v_cndmask_b32_e64 v14, v15, v14, s[0:1]
	v_cndmask_b32_e32 v15, v22, v18, vcc
	v_cndmask_b32_e64 v13, v13, v15, s[0:1]
	v_cndmask_b32_e64 v14, v14, v17, s[2:3]
	;; [unrolled: 1-line block ×3, first 2 shown]
	v_sub_u32_e32 v19, 32, v26
	v_alignbit_b32 v21, v14, v17, v19
	v_cmp_eq_u32_e64 s[4:5], 0, v26
	v_cndmask_b32_e32 v12, v18, v12, vcc
	s_nop 0
	v_cndmask_b32_e64 v21, v21, v14, s[4:5]
	v_cndmask_b32_e32 v14, v20, v16, vcc
	v_cndmask_b32_e64 v15, v15, v14, s[0:1]
	v_cndmask_b32_e64 v13, v13, v15, s[2:3]
	v_alignbit_b32 v16, v17, v13, v19
	v_cndmask_b32_e64 v16, v16, v17, s[4:5]
	v_bfe_u32 v22, v21, 29, 1
	v_cndmask_b32_e64 v12, v14, v12, s[0:1]
	v_alignbit_b32 v17, v21, v16, 30
	v_sub_u32_e32 v23, 0, v22
	v_cndmask_b32_e64 v12, v15, v12, s[2:3]
	v_xor_b32_e32 v17, v17, v23
	v_alignbit_b32 v14, v13, v12, v19
	v_cndmask_b32_e64 v13, v14, v13, s[4:5]
	v_ffbh_u32_e32 v15, v17
	v_alignbit_b32 v14, v16, v13, 30
	v_min_u32_e32 v15, 32, v15
	v_alignbit_b32 v12, v13, v12, 30
	v_xor_b32_e32 v14, v14, v23
	v_sub_u32_e32 v16, 31, v15
	v_xor_b32_e32 v12, v12, v23
	v_alignbit_b32 v17, v17, v14, v16
	v_alignbit_b32 v12, v14, v12, v16
	;; [unrolled: 1-line block ×3, first 2 shown]
	v_ffbh_u32_e32 v14, v13
	v_min_u32_e32 v14, 32, v14
	v_lshrrev_b32_e32 v20, 29, v21
	v_not_b32_e32 v16, v14
	v_alignbit_b32 v12, v13, v12, v16
	v_lshlrev_b32_e32 v13, 31, v20
	v_or_b32_e32 v16, 0x33000000, v13
	v_add_lshl_u32 v14, v14, v15, 23
	v_lshrrev_b32_e32 v12, 9, v12
	v_sub_u32_e32 v14, v16, v14
	v_or_b32_e32 v13, 0.5, v13
	v_lshlrev_b32_e32 v15, 23, v15
	v_or_b32_e32 v12, v14, v12
	v_lshrrev_b32_e32 v14, 9, v17
	v_sub_u32_e32 v13, v13, v15
	v_or_b32_e32 v13, v14, v13
	s_mov_b32 s0, 0x3fc90fda
	v_mul_f32_e32 v14, 0x3fc90fda, v13
	v_fma_f32 v15, v13, s0, -v14
	v_fmamk_f32 v13, v13, 0x33a22168, v15
	v_fmac_f32_e32 v13, 0x3fc90fda, v12
	v_lshrrev_b32_e32 v12, 30, v21
	v_add_f32_e32 v14, v14, v13
	v_add_u32_e32 v13, v22, v12
	s_andn2_saveexec_b64 s[0:1], s[10:11]
	s_cbranch_execnz .LBB19_136
	s_branch .LBB19_137
.LBB19_135:
	s_andn2_saveexec_b64 s[0:1], s[10:11]
	s_cbranch_execz .LBB19_137
.LBB19_136:
	s_mov_b32 s2, 0x3f22f983
	v_mul_f32_e64 v12, |v8|, s2
	v_rndne_f32_e32 v12, v12
	s_mov_b32 s2, 0xbfc90fda
	v_cvt_i32_f32_e32 v13, v12
	v_fma_f32 v14, v12, s2, |v8|
	v_fmamk_f32 v14, v12, 0xb3a22168, v14
	v_fmamk_f32 v14, v12, 0xa7c234c4, v14
.LBB19_137:
	s_or_b64 exec, exec, s[0:1]
	s_mov_b32 s2, 0x40a00000
	v_div_scale_f32 v12, s[0:1], v7, v7, s2
	v_rcp_f32_e32 v15, v12
	v_div_scale_f32 v16, vcc, s2, v7, s2
	v_mov_b32_e32 v19, 0x42947983
	v_fma_f32 v17, -v12, v15, 1.0
	v_fmac_f32_e32 v15, v17, v15
	v_mul_f32_e32 v17, v16, v15
	v_fma_f32 v18, -v12, v17, v16
	v_fmac_f32_e32 v17, v18, v15
	v_fma_f32 v12, -v12, v17, v16
	v_div_fmas_f32 v12, v12, v15, v17
	v_div_fixup_f32 v12, v12, v7, s2
	v_mul_f32_e32 v15, v12, v12
	v_mov_b32_e32 v16, 0x3a47c962
	v_mov_b32_e32 v17, 0x3a15c4d9
	v_fmac_f32_e32 v16, 0, v15
	v_fmac_f32_e32 v17, 0, v15
	v_fmaak_f32 v16, v15, v16, 0x3d95ca45
	v_fmaak_f32 v17, v15, v17, 0x3d8cfeeb
	;; [unrolled: 1-line block ×8, first 2 shown]
	v_mov_b32_e32 v18, 0x3d513fd3
	v_fmaak_f32 v16, v15, v16, 0x40a6dd51
	v_fmaak_f32 v17, v15, v17, 0x40a6b6ea
	v_fmac_f32_e32 v18, 0, v15
	v_fma_f32 v17, v15, v17, 1.0
	v_fmaak_f32 v18, v15, v18, 0x409f6dae
	v_fmac_f32_e32 v19, 0, v15
	v_fma_f32 v16, v15, v16, 1.0
	v_fmaak_f32 v18, v15, v18, 0x4297a5cd
	v_fmaak_f32 v19, v15, v19, 0x44840e5d
	v_div_scale_f32 v20, s[0:1], v17, v17, v16
	v_fmaak_f32 v18, v15, v18, 0x43b763ca
	v_fmaak_f32 v19, v15, v19, 0x459bd349
	v_rcp_f32_e32 v21, v20
	v_fmaak_f32 v18, v15, v18, 0x4431b6ce
	v_fmaak_f32 v19, v15, v19, 0x46156947
	;; [unrolled: 1-line block ×8, first 2 shown]
	v_fma_f32 v19, -v20, v21, 1.0
	v_fmac_f32_e32 v21, v19, v21
	v_div_scale_f32 v19, vcc, v16, v17, v16
	v_mul_f32_e32 v22, v19, v21
	v_fma_f32 v23, -v20, v22, v19
	v_fmac_f32_e32 v22, v23, v21
	v_fma_f32 v19, -v20, v22, v19
	v_div_fmas_f32 v19, v19, v21, v22
	v_div_fixup_f32 v16, v19, v17, v16
	v_mul_f32_e32 v17, v11, v11
	v_mov_b32_e32 v19, 0x3c0881c4
	v_fmamk_f32 v20, v17, 0xb94c1982, v19
	v_fmaak_f32 v20, v17, v20, 0xbe2aaa9d
	v_mul_f32_e32 v20, v17, v20
	v_fmac_f32_e32 v11, v11, v20
	v_mov_b32_e32 v20, 0xbab64f3b
	v_fmamk_f32 v22, v17, 0x37d75334, v20
	v_fmaak_f32 v22, v17, v22, 0x3d2aabf7
	v_fmaak_f32 v22, v17, v22, 0xbf000004
	v_fma_f32 v17, v17, v22, 1.0
	v_and_b32_e32 v22, 1, v10
	v_lshlrev_b32_e32 v10, 30, v10
	v_cmp_eq_u32_e32 vcc, 0, v22
	v_and_b32_e32 v10, 0x80000000, v10
	v_xor_b32_e32 v9, v9, v8
	v_cndmask_b32_e32 v11, v17, v11, vcc
	v_xor_b32_e32 v9, v9, v10
	v_div_scale_f32 v10, s[0:1], v15, v15, v18
	v_xor_b32_e32 v9, v9, v11
	v_rcp_f32_e32 v11, v10
	s_movk_i32 s3, 0x1f8
	v_mov_b32_e32 v17, 0x7fc00000
	v_cmp_class_f32_e64 s[0:1], v8, s3
	v_mov_b32_e32 v21, 0xbe2aaa9d
	v_mov_b32_e32 v23, 0x3d2aabf7
	v_cndmask_b32_e64 v8, v17, v9, s[0:1]
	v_fma_f32 v9, -v10, v11, 1.0
	v_fmac_f32_e32 v11, v9, v11
	v_div_scale_f32 v9, vcc, v18, v15, v18
	v_mul_f32_e32 v22, v9, v11
	v_fma_f32 v25, -v10, v22, v9
	v_fmac_f32_e32 v22, v25, v11
	v_fma_f32 v9, -v10, v22, v9
	v_mul_f32_e32 v10, v14, v14
	v_fmac_f32_e32 v19, 0xb94c1982, v10
	v_fmac_f32_e32 v21, v10, v19
	;; [unrolled: 1-line block ×3, first 2 shown]
	v_mov_b32_e32 v24, 0xbf000004
	v_div_fmas_f32 v9, v9, v11, v22
	v_mul_f32_e32 v11, v10, v21
	v_fmac_f32_e32 v23, v10, v20
	v_fmac_f32_e32 v14, v14, v11
	;; [unrolled: 1-line block ×3, first 2 shown]
	v_and_b32_e32 v11, 1, v13
	v_fma_f32 v10, v10, v24, 1.0
	v_cmp_eq_u32_e32 vcc, 0, v11
	s_brev_b32 s2, 1
	v_lshlrev_b32_e32 v11, 30, v13
	v_cndmask_b32_e64 v10, -v14, v10, vcc
	v_bitop3_b32 v10, v11, v10, s2 bitop3:0x6c
	v_cndmask_b32_e64 v10, v17, v10, s[0:1]
	s_mov_b32 s0, 0xf800000
	v_mul_f32_e32 v11, 0x4f800000, v7
	v_cmp_gt_f32_e32 vcc, s0, v7
	v_div_fixup_f32 v9, v9, v15, v18
	v_mul_f32_e32 v9, v12, v9
	v_cndmask_b32_e32 v7, v7, v11, vcc
	v_sqrt_f32_e32 v11, v7
	v_mul_f32_e32 v9, v9, v10
	v_fmac_f32_e32 v9, v16, v8
	v_mul_f32_e32 v8, 0x3f4c422a, v9
	v_add_u32_e32 v9, -1, v11
	v_fma_f32 v10, -v9, v11, v7
	v_cmp_ge_f32_e64 s[0:1], 0, v10
	v_add_u32_e32 v10, 1, v11
	s_nop 0
	v_cndmask_b32_e64 v9, v11, v9, s[0:1]
	v_fma_f32 v11, -v10, v11, v7
	v_cmp_lt_f32_e64 s[0:1], 0, v11
	s_nop 1
	v_cndmask_b32_e64 v9, v9, v10, s[0:1]
	v_mul_f32_e32 v10, 0x37800000, v9
	v_cndmask_b32_e32 v9, v9, v10, vcc
	v_mov_b32_e32 v10, 0x260
	v_cmp_class_f32_e32 vcc, v7, v10
	s_nop 1
	v_cndmask_b32_e32 v7, v9, v7, vcc
	v_div_scale_f32 v9, s[0:1], v7, v7, v8
	v_rcp_f32_e32 v10, v9
	s_nop 0
	v_fma_f32 v11, -v9, v10, 1.0
	v_fmac_f32_e32 v10, v11, v10
	v_div_scale_f32 v11, vcc, v8, v7, v8
	v_mul_f32_e32 v12, v11, v10
	v_fma_f32 v13, -v9, v12, v11
	v_fmac_f32_e32 v12, v13, v10
	v_fma_f32 v9, -v9, v12, v11
	v_div_fmas_f32 v9, v9, v10, v12
	v_div_fixup_f32 v8, v9, v7, v8
.LBB19_138:
	s_or_b64 exec, exec, s[6:7]
	global_store_dword v0, v1, s[8:9]
	global_store_dword v2, v3, s[8:9]
	;; [unrolled: 1-line block ×4, first 2 shown]
	s_endpgm
.LBB19_139:
	v_mov_b32_e32 v2, 0
	v_mov_b32_e32 v0, 0
	s_branch .LBB19_145
.LBB19_140:
	v_mov_b32_e32 v2, 0
	v_mov_b32_e32 v0, 0
	s_branch .LBB19_178
.LBB19_141:
	v_mov_b32_e32 v0, 0
	s_mov_b32 s57, 0
	v_mov_b32_e32 v1, v0
                                        ; implicit-def: $vgpr2
	v_mov_b32_e32 v5, v4
.LBB19_142:
	s_and_b32 s4, s58, 3
	s_cmp_eq_u32 s4, 0
	s_cbranch_scc1 .LBB19_145
; %bb.143:
	s_lshl_b32 s0, s57, 3
	s_add_u32 s0, s34, s0
	s_addc_u32 s1, s35, 0
	s_add_u32 s0, s0, 0xc4
	s_addc_u32 s1, s1, 0
	s_mul_i32 s2, s57, 12
	s_add_u32 s2, s34, s2
	s_addc_u32 s3, s35, 0
.LBB19_144:                             ; =>This Inner Loop Header: Depth=1
	s_load_dwordx2 s[6:7], s[2:3], 0x4
	s_load_dword s5, s[2:3], 0xc
	s_load_dwordx2 s[8:9], s[0:1], 0x0
	v_mov_b32_e32 v2, v1
	s_add_u32 s2, s2, 12
	s_waitcnt lgkmcnt(0)
	v_mul_hi_u32 v1, s7, v5
	v_add_u32_e32 v1, v5, v1
	v_lshrrev_b32_e32 v1, s5, v1
	s_addc_u32 s3, s3, 0
	v_mul_lo_u32 v3, v1, s6
	s_add_u32 s0, s0, 8
	v_sub_u32_e32 v6, v5, v3
	s_addc_u32 s1, s1, 0
	s_add_i32 s4, s4, -1
	v_mov_b32_e32 v5, v1
	v_mad_u64_u32 v[2:3], s[6:7], v6, s9, v[2:3]
	v_mad_u64_u32 v[0:1], s[6:7], v6, s8, v[0:1]
	s_cmp_lg_u32 s4, 0
	v_mov_b32_e32 v1, v2
	s_cbranch_scc1 .LBB19_144
.LBB19_145:
	s_cbranch_execnz .LBB19_148
.LBB19_146:
	s_waitcnt lgkmcnt(0)
	v_mul_hi_u32 v0, s25, v4
	v_add_u32_e32 v0, v4, v0
	v_lshrrev_b32_e32 v1, s26, v0
	v_mul_lo_u32 v0, v1, s24
	v_sub_u32_e32 v0, v4, v0
	v_mul_lo_u32 v2, v0, s21
	s_andn2_b64 vcc, exec, s[42:43]
	v_mul_lo_u32 v0, v0, s20
	s_cbranch_vccnz .LBB19_148
; %bb.147:
	v_mul_hi_u32 v3, s40, v1
	v_add_u32_e32 v3, v1, v3
	v_lshrrev_b32_e32 v3, s41, v3
	v_mul_lo_u32 v3, v3, s27
	v_sub_u32_e32 v3, v1, v3
	v_mad_u64_u32 v[0:1], s[0:1], v3, s22, v[0:1]
	v_mad_u64_u32 v[2:3], s[0:1], v3, s23, v[2:3]
.LBB19_148:
	s_waitcnt lgkmcnt(0)
	global_load_dword v1, v2, s[18:19]
	s_mov_b32 s0, 0x40a00000
                                        ; implicit-def: $vgpr2
	s_waitcnt vmcnt(0)
	v_cmp_ge_f32_e32 vcc, s0, v1
	s_and_saveexec_b64 s[0:1], vcc
	s_xor_b64 s[2:3], exec, s[0:1]
	s_cbranch_execz .LBB19_154
; %bb.149:
	v_cmp_neq_f32_e32 vcc, 0, v1
	v_mov_b32_e32 v2, 0xff800000
	s_and_saveexec_b64 s[4:5], vcc
	s_cbranch_execz .LBB19_153
; %bb.150:
	v_cmp_nge_f32_e32 vcc, 0, v1
	v_mov_b32_e32 v2, 0x7fc00000
	s_and_saveexec_b64 s[6:7], vcc
	s_cbranch_execz .LBB19_152
; %bb.151:
	v_mul_f32_e32 v2, v1, v1
	v_mov_b32_e32 v3, 0x4414934d
	v_fmac_f32_e32 v3, 0, v2
	v_fmaak_f32 v3, v2, v3, 0x48660b06
	s_mov_b32 s0, 0x4e9695f3
	v_mul_f32_e32 v6, 0, v2
	v_mul_f32_e32 v7, v2, v3
	s_mov_b32 s1, 0x4c8c277d
	v_pk_add_f32 v[8:9], v[6:7], s[0:1]
	s_mov_b32 s0, 0xd316b96b
	s_mov_b32 s1, 0x508bc61d
	v_pk_fma_f32 v[8:9], v[2:3], v[8:9], s[0:1] op_sel_hi:[0,1,1]
	s_mov_b32 s0, 0x56d04aa6
	s_mov_b32 s1, 0x5461faf8
	v_pk_fma_f32 v[8:9], v[2:3], v[8:9], s[0:1] op_sel_hi:[0,1,1]
	;; [unrolled: 3-line block ×5, first 2 shown]
	v_div_scale_f32 v3, s[0:1], v9, v9, v8
	v_rcp_f32_e32 v5, v3
	s_mov_b32 s0, 0xce5691e2
	s_mov_b32 s1, 0x548a37dc
	v_fma_f32 v7, -v3, v5, 1.0
	v_fmac_f32_e32 v5, v7, v5
	v_div_scale_f32 v7, vcc, v8, v9, v8
	v_mul_f32_e32 v10, v7, v5
	v_fma_f32 v11, -v3, v10, v7
	v_fmac_f32_e32 v10, v11, v5
	v_fma_f32 v3, -v3, v10, v7
	v_mov_b32_e32 v7, 0x441b3589
	v_fmac_f32_e32 v7, 0, v2
	v_fmaak_f32 v7, v2, v7, 0x487af6d0
	v_fmaak_f32 v7, v2, v7, 0x4c9f4aa7
	;; [unrolled: 1-line block ×3, first 2 shown]
	v_mul_f32_e32 v7, v2, v7
	v_pk_add_f32 v[6:7], v[6:7], s[0:1]
	s_mov_b32 s0, 0x52d295d0
	s_mov_b32 s1, 0x58325852
	v_pk_fma_f32 v[6:7], v[2:3], v[6:7], s[0:1] op_sel_hi:[0,1,1]
	s_mov_b32 s0, 0xd6845497
	s_mov_b32 s1, 0x5b9f0600
	v_pk_fma_f32 v[6:7], v[2:3], v[6:7], s[0:1] op_sel_hi:[0,1,1]
	;; [unrolled: 3-line block ×3, first 2 shown]
	v_div_scale_f32 v11, s[0:1], v7, v7, v6
	v_rcp_f32_e32 v12, v11
	v_div_fmas_f32 v3, v3, v5, v10
	v_div_fixup_f32 v5, v3, v9, v8
	s_mov_b32 s0, 0xc244dfb3
	v_fma_f32 v3, -v11, v12, 1.0
	v_fmac_f32_e32 v12, v3, v12
	v_div_scale_f32 v3, vcc, v6, v7, v6
	v_mul_f32_e32 v8, v3, v12
	v_fma_f32 v9, -v11, v8, v3
	v_fmac_f32_e32 v8, v9, v12
	v_fma_f32 v3, -v11, v8, v3
	v_div_fmas_f32 v3, v3, v12, v8
	v_div_fixup_f32 v3, v3, v7, v6
	s_mov_b32 s1, 0xc16ae95a
	v_mul_f32_e32 v6, v1, v3
	v_pk_add_f32 v[2:3], v[2:3], s[0:1] op_sel_hi:[0,1]
	s_mov_b32 s0, 0x800000
	v_cmp_gt_f32_e32 vcc, s0, v1
	v_mul_f32_e32 v3, v3, v6
	v_mul_f32_e32 v2, v2, v3
	v_cndmask_b32_e64 v7, 0, 32, vcc
	v_ldexp_f32 v7, v1, v7
	v_log_f32_e32 v7, v7
	s_mov_b32 s0, 0x3f317217
	v_mov_b32_e32 v8, 0x41b17218
	v_cndmask_b32_e32 v8, 0, v8, vcc
	v_mul_f32_e32 v3, 0x3f317217, v7
	v_fma_f32 v3, v7, s0, -v3
	v_fmamk_f32 v3, v7, 0x3377d1cf, v3
	s_mov_b32 s0, 0x7f800000
	v_fmac_f32_e32 v3, 0x3f317217, v7
	v_cmp_lt_f32_e64 s[0:1], |v7|, s0
	s_nop 1
	v_cndmask_b32_e64 v3, v7, v3, s[0:1]
	v_div_scale_f32 v6, s[0:1], v1, v1, -1.0
	v_rcp_f32_e32 v7, v6
	v_sub_f32_e32 v3, v3, v8
	v_fma_f32 v8, -v6, v7, 1.0
	v_fmac_f32_e32 v7, v8, v7
	v_div_scale_f32 v8, vcc, -1.0, v1, -1.0
	v_mul_f32_e32 v9, v8, v7
	v_fma_f32 v10, -v6, v9, v8
	v_fmac_f32_e32 v9, v10, v7
	v_fma_f32 v6, -v6, v9, v8
	v_div_fmas_f32 v6, v6, v7, v9
	v_div_fixup_f32 v6, v6, v1, -1.0
	v_fmac_f32_e32 v6, v3, v2
	v_mul_f32_e32 v2, 0x3f22f983, v6
	v_fmac_f32_e32 v2, v1, v5
.LBB19_152:
	s_or_b64 exec, exec, s[6:7]
.LBB19_153:
	s_or_b64 exec, exec, s[4:5]
                                        ; implicit-def: $vgpr1
.LBB19_154:
	s_andn2_saveexec_b64 s[6:7], s[2:3]
	s_cbranch_execz .LBB19_164
; %bb.155:
	v_add_f32_e32 v2, 0xc016cbe4, v1
	s_brev_b32 s0, 18
	v_and_b32_e32 v3, 0x7fffffff, v2
	v_cmp_nlt_f32_e64 s[8:9], |v2|, s0
                                        ; implicit-def: $vgpr5
                                        ; implicit-def: $vgpr6
	s_and_saveexec_b64 s[0:1], s[8:9]
	s_xor_b64 s[10:11], exec, s[0:1]
	s_cbranch_execz .LBB19_157
; %bb.156:
	v_lshrrev_b32_e32 v5, 23, v3
	v_add_u32_e32 v5, 0xffffff88, v5
	v_not_b32_e32 v6, 63
	v_cmp_lt_u32_e32 vcc, 63, v5
	s_mov_b32 s4, 0xfe5163ab
	v_mov_b32_e32 v9, 0
	v_cndmask_b32_e32 v6, 0, v6, vcc
	v_add_u32_e32 v5, v6, v5
	v_not_b32_e32 v6, 31
	v_cmp_lt_u32_e64 s[0:1], 31, v5
	s_nop 1
	v_cndmask_b32_e64 v7, 0, v6, s[0:1]
	v_add_u32_e32 v5, v7, v5
	v_cmp_lt_u32_e64 s[2:3], 31, v5
	s_nop 1
	v_cndmask_b32_e64 v6, 0, v6, s[2:3]
	v_add_u32_e32 v5, v6, v5
	v_and_b32_e32 v6, 0x7fffff, v3
	v_or_b32_e32 v20, 0x800000, v6
	v_mad_u64_u32 v[6:7], s[4:5], v20, s4, 0
	v_mov_b32_e32 v8, v7
	s_mov_b32 s4, 0x3c439041
	v_mad_u64_u32 v[10:11], s[4:5], v20, s4, v[8:9]
	v_mov_b32_e32 v8, v11
	s_mov_b32 s4, 0xdb629599
	;; [unrolled: 3-line block ×6, first 2 shown]
	v_mad_u64_u32 v[8:9], s[4:5], v20, s4, v[8:9]
	v_cndmask_b32_e32 v7, v18, v14, vcc
	v_cndmask_b32_e32 v8, v8, v16, vcc
	;; [unrolled: 1-line block ×3, first 2 shown]
	v_cndmask_b32_e64 v11, v8, v7, s[0:1]
	v_cndmask_b32_e64 v8, v9, v8, s[0:1]
	v_cndmask_b32_e32 v9, v16, v12, vcc
	v_cndmask_b32_e64 v7, v7, v9, s[0:1]
	v_cndmask_b32_e64 v8, v8, v11, s[2:3]
	;; [unrolled: 1-line block ×3, first 2 shown]
	v_sub_u32_e32 v13, 32, v5
	v_alignbit_b32 v15, v8, v11, v13
	v_cmp_eq_u32_e64 s[4:5], 0, v5
	v_cndmask_b32_e32 v6, v12, v6, vcc
	s_nop 0
	v_cndmask_b32_e64 v5, v15, v8, s[4:5]
	v_cndmask_b32_e32 v8, v14, v10, vcc
	v_cndmask_b32_e64 v9, v9, v8, s[0:1]
	v_cndmask_b32_e64 v7, v7, v9, s[2:3]
	v_alignbit_b32 v10, v11, v7, v13
	v_cndmask_b32_e64 v10, v10, v11, s[4:5]
	v_bfe_u32 v15, v5, 29, 1
	v_cndmask_b32_e64 v6, v8, v6, s[0:1]
	v_alignbit_b32 v11, v5, v10, 30
	v_sub_u32_e32 v16, 0, v15
	v_cndmask_b32_e64 v6, v9, v6, s[2:3]
	v_xor_b32_e32 v11, v11, v16
	v_alignbit_b32 v8, v7, v6, v13
	v_cndmask_b32_e64 v7, v8, v7, s[4:5]
	v_ffbh_u32_e32 v9, v11
	v_alignbit_b32 v8, v10, v7, 30
	v_min_u32_e32 v9, 32, v9
	v_alignbit_b32 v6, v7, v6, 30
	v_xor_b32_e32 v8, v8, v16
	v_sub_u32_e32 v10, 31, v9
	v_xor_b32_e32 v6, v6, v16
	v_alignbit_b32 v11, v11, v8, v10
	v_alignbit_b32 v6, v8, v6, v10
	;; [unrolled: 1-line block ×3, first 2 shown]
	v_ffbh_u32_e32 v8, v7
	v_min_u32_e32 v8, 32, v8
	v_lshrrev_b32_e32 v14, 29, v5
	v_not_b32_e32 v10, v8
	v_alignbit_b32 v6, v7, v6, v10
	v_lshlrev_b32_e32 v7, 31, v14
	v_or_b32_e32 v10, 0x33000000, v7
	v_add_lshl_u32 v8, v8, v9, 23
	v_lshrrev_b32_e32 v6, 9, v6
	v_sub_u32_e32 v8, v10, v8
	v_or_b32_e32 v7, 0.5, v7
	v_lshlrev_b32_e32 v9, 23, v9
	v_or_b32_e32 v6, v8, v6
	v_lshrrev_b32_e32 v8, 9, v11
	v_sub_u32_e32 v7, v7, v9
	v_or_b32_e32 v7, v8, v7
	s_mov_b32 s0, 0x3fc90fda
	v_mul_f32_e32 v8, 0x3fc90fda, v7
	v_fma_f32 v9, v7, s0, -v8
	v_fmamk_f32 v7, v7, 0x33a22168, v9
	v_fmac_f32_e32 v7, 0x3fc90fda, v6
	v_lshrrev_b32_e32 v5, 30, v5
	v_add_f32_e32 v6, v8, v7
	v_add_u32_e32 v5, v15, v5
	s_andn2_saveexec_b64 s[0:1], s[10:11]
	s_cbranch_execz .LBB19_159
	s_branch .LBB19_158
.LBB19_157:
	s_andn2_saveexec_b64 s[0:1], s[10:11]
	s_cbranch_execz .LBB19_159
.LBB19_158:
	s_mov_b32 s2, 0x3f22f983
	v_mul_f32_e64 v5, |v2|, s2
	v_rndne_f32_e32 v6, v5
	s_mov_b32 s2, 0xbfc90fda
	v_cvt_i32_f32_e32 v5, v6
	v_fma_f32 v7, v6, s2, |v2|
	v_fmamk_f32 v7, v6, 0xb3a22168, v7
	v_fmamk_f32 v6, v6, 0xa7c234c4, v7
.LBB19_159:
	s_or_b64 exec, exec, s[0:1]
                                        ; implicit-def: $vgpr7
                                        ; implicit-def: $vgpr8
	s_and_saveexec_b64 s[0:1], s[8:9]
	s_xor_b64 s[8:9], exec, s[0:1]
	s_cbranch_execz .LBB19_161
; %bb.160:
	v_lshrrev_b32_e32 v7, 23, v3
	v_add_u32_e32 v7, 0xffffff88, v7
	v_not_b32_e32 v8, 63
	v_cmp_lt_u32_e32 vcc, 63, v7
	s_mov_b32 s4, 0xfe5163ab
	v_mov_b32_e32 v11, 0
	v_cndmask_b32_e32 v8, 0, v8, vcc
	v_add_u32_e32 v7, v8, v7
	v_not_b32_e32 v8, 31
	v_cmp_lt_u32_e64 s[0:1], 31, v7
	s_nop 1
	v_cndmask_b32_e64 v9, 0, v8, s[0:1]
	v_add_u32_e32 v7, v9, v7
	v_cmp_lt_u32_e64 s[2:3], 31, v7
	s_nop 1
	v_cndmask_b32_e64 v8, 0, v8, s[2:3]
	v_add_u32_e32 v7, v8, v7
	v_and_b32_e32 v8, 0x7fffff, v3
	v_or_b32_e32 v22, 0x800000, v8
	v_mad_u64_u32 v[8:9], s[4:5], v22, s4, 0
	v_mov_b32_e32 v10, v9
	s_mov_b32 s4, 0x3c439041
	v_mad_u64_u32 v[12:13], s[4:5], v22, s4, v[10:11]
	v_mov_b32_e32 v10, v13
	s_mov_b32 s4, 0xdb629599
	v_mad_u64_u32 v[14:15], s[4:5], v22, s4, v[10:11]
	v_mov_b32_e32 v10, v15
	s_mov_b32 s4, 0xf534ddc0
	v_mad_u64_u32 v[16:17], s[4:5], v22, s4, v[10:11]
	v_mov_b32_e32 v10, v17
	s_mov_b32 s4, 0xfc2757d1
	v_mad_u64_u32 v[18:19], s[4:5], v22, s4, v[10:11]
	v_mov_b32_e32 v10, v19
	s_mov_b32 s4, 0x4e441529
	v_mad_u64_u32 v[20:21], s[4:5], v22, s4, v[10:11]
	v_mov_b32_e32 v10, v21
	s_mov_b32 s4, 0xa2f9836e
	v_mad_u64_u32 v[10:11], s[4:5], v22, s4, v[10:11]
	v_cndmask_b32_e32 v9, v20, v16, vcc
	v_cndmask_b32_e32 v10, v10, v18, vcc
	;; [unrolled: 1-line block ×3, first 2 shown]
	v_cndmask_b32_e64 v13, v10, v9, s[0:1]
	v_cndmask_b32_e64 v10, v11, v10, s[0:1]
	v_cndmask_b32_e32 v11, v18, v14, vcc
	v_cndmask_b32_e64 v9, v9, v11, s[0:1]
	v_cndmask_b32_e64 v10, v10, v13, s[2:3]
	;; [unrolled: 1-line block ×3, first 2 shown]
	v_sub_u32_e32 v15, 32, v7
	v_alignbit_b32 v17, v10, v13, v15
	v_cmp_eq_u32_e64 s[4:5], 0, v7
	v_cndmask_b32_e32 v8, v14, v8, vcc
	s_nop 0
	v_cndmask_b32_e64 v7, v17, v10, s[4:5]
	v_cndmask_b32_e32 v10, v16, v12, vcc
	v_cndmask_b32_e64 v11, v11, v10, s[0:1]
	v_cndmask_b32_e64 v9, v9, v11, s[2:3]
	v_alignbit_b32 v12, v13, v9, v15
	v_cndmask_b32_e64 v12, v12, v13, s[4:5]
	v_bfe_u32 v17, v7, 29, 1
	v_cndmask_b32_e64 v8, v10, v8, s[0:1]
	v_alignbit_b32 v13, v7, v12, 30
	v_sub_u32_e32 v18, 0, v17
	v_cndmask_b32_e64 v8, v11, v8, s[2:3]
	v_xor_b32_e32 v13, v13, v18
	v_alignbit_b32 v10, v9, v8, v15
	v_cndmask_b32_e64 v9, v10, v9, s[4:5]
	v_ffbh_u32_e32 v11, v13
	v_alignbit_b32 v10, v12, v9, 30
	v_min_u32_e32 v11, 32, v11
	v_alignbit_b32 v8, v9, v8, 30
	v_xor_b32_e32 v10, v10, v18
	v_sub_u32_e32 v12, 31, v11
	v_xor_b32_e32 v8, v8, v18
	v_alignbit_b32 v13, v13, v10, v12
	v_alignbit_b32 v8, v10, v8, v12
	;; [unrolled: 1-line block ×3, first 2 shown]
	v_ffbh_u32_e32 v10, v9
	v_min_u32_e32 v10, 32, v10
	v_lshrrev_b32_e32 v16, 29, v7
	v_not_b32_e32 v12, v10
	v_alignbit_b32 v8, v9, v8, v12
	v_lshlrev_b32_e32 v9, 31, v16
	v_or_b32_e32 v12, 0x33000000, v9
	v_add_lshl_u32 v10, v10, v11, 23
	v_lshrrev_b32_e32 v8, 9, v8
	v_sub_u32_e32 v10, v12, v10
	v_or_b32_e32 v9, 0.5, v9
	v_lshlrev_b32_e32 v11, 23, v11
	v_or_b32_e32 v8, v10, v8
	v_lshrrev_b32_e32 v10, 9, v13
	v_sub_u32_e32 v9, v9, v11
	v_or_b32_e32 v9, v10, v9
	s_mov_b32 s0, 0x3fc90fda
	v_mul_f32_e32 v10, 0x3fc90fda, v9
	v_fma_f32 v11, v9, s0, -v10
	v_fmamk_f32 v9, v9, 0x33a22168, v11
	v_fmac_f32_e32 v9, 0x3fc90fda, v8
	v_lshrrev_b32_e32 v7, 30, v7
	v_add_f32_e32 v8, v10, v9
	v_add_u32_e32 v7, v17, v7
	s_andn2_saveexec_b64 s[0:1], s[8:9]
	s_cbranch_execnz .LBB19_162
	s_branch .LBB19_163
.LBB19_161:
	s_andn2_saveexec_b64 s[0:1], s[8:9]
	s_cbranch_execz .LBB19_163
.LBB19_162:
	s_mov_b32 s2, 0x3f22f983
	v_mul_f32_e64 v7, |v2|, s2
	v_rndne_f32_e32 v8, v7
	s_mov_b32 s2, 0xbfc90fda
	v_cvt_i32_f32_e32 v7, v8
	v_fma_f32 v9, v8, s2, |v2|
	v_fmamk_f32 v9, v8, 0xb3a22168, v9
	v_fmamk_f32 v8, v8, 0xa7c234c4, v9
.LBB19_163:
	s_or_b64 exec, exec, s[0:1]
	s_mov_b32 s2, 0x40a00000
	v_div_scale_f32 v9, s[0:1], v1, v1, s2
	v_rcp_f32_e32 v10, v9
	v_div_scale_f32 v11, vcc, s2, v1, s2
	v_mov_b32_e32 v14, 0x42947983
	v_fma_f32 v12, -v9, v10, 1.0
	v_fmac_f32_e32 v10, v12, v10
	v_mul_f32_e32 v12, v11, v10
	v_fma_f32 v13, -v9, v12, v11
	v_fmac_f32_e32 v12, v13, v10
	v_fma_f32 v9, -v9, v12, v11
	v_div_fmas_f32 v9, v9, v10, v12
	v_div_fixup_f32 v9, v9, v1, s2
	v_mul_f32_e32 v10, v9, v9
	v_mov_b32_e32 v11, 0x3a47c962
	v_mov_b32_e32 v12, 0x3a15c4d9
	v_fmac_f32_e32 v11, 0, v10
	v_fmac_f32_e32 v12, 0, v10
	v_fmaak_f32 v11, v10, v11, 0x3d95ca45
	v_fmaak_f32 v12, v10, v12, 0x3d8cfeeb
	v_fmaak_f32 v11, v10, v11, 0x3f9047f6
	v_fmaak_f32 v12, v10, v12, 0x3f8d754e
	v_fmaak_f32 v11, v10, v11, 0x40a39628
	v_fmaak_f32 v12, v10, v12, 0x40a25d18
	v_fmaak_f32 v11, v10, v11, 0x4106c8e4
	v_fmaak_f32 v12, v10, v12, 0x410665cf
	v_mov_b32_e32 v13, 0x3d513fd3
	v_fmaak_f32 v11, v10, v11, 0x40a6dd51
	v_fmaak_f32 v12, v10, v12, 0x40a6b6ea
	v_fmac_f32_e32 v13, 0, v10
	v_fma_f32 v12, v10, v12, 1.0
	v_fmaak_f32 v13, v10, v13, 0x409f6dae
	v_fmac_f32_e32 v14, 0, v10
	v_fma_f32 v11, v10, v11, 1.0
	v_fmaak_f32 v13, v10, v13, 0x4297a5cd
	v_fmaak_f32 v14, v10, v14, 0x44840e5d
	v_div_scale_f32 v15, s[0:1], v12, v12, v11
	v_fmaak_f32 v13, v10, v13, 0x43b763ca
	v_fmaak_f32 v14, v10, v14, 0x459bd349
	v_rcp_f32_e32 v16, v15
	v_fmaak_f32 v13, v10, v13, 0x4431b6ce
	v_fmaak_f32 v14, v10, v14, 0x46156947
	;; [unrolled: 1-line block ×8, first 2 shown]
	v_fma_f32 v14, -v15, v16, 1.0
	v_fmac_f32_e32 v16, v14, v16
	v_div_scale_f32 v14, vcc, v11, v12, v11
	v_mul_f32_e32 v17, v14, v16
	v_fma_f32 v18, -v15, v17, v14
	v_fmac_f32_e32 v17, v18, v16
	v_fma_f32 v14, -v15, v17, v14
	v_div_fmas_f32 v14, v14, v16, v17
	v_div_fixup_f32 v11, v14, v12, v11
	v_mul_f32_e32 v12, v6, v6
	v_mov_b32_e32 v14, 0x3c0881c4
	v_fmamk_f32 v15, v12, 0xb94c1982, v14
	v_fmaak_f32 v15, v12, v15, 0xbe2aaa9d
	v_mul_f32_e32 v15, v12, v15
	v_fmac_f32_e32 v6, v6, v15
	v_mov_b32_e32 v15, 0xbab64f3b
	v_fmamk_f32 v17, v12, 0x37d75334, v15
	v_fmaak_f32 v17, v12, v17, 0x3d2aabf7
	v_fmaak_f32 v17, v12, v17, 0xbf000004
	v_fma_f32 v12, v12, v17, 1.0
	v_and_b32_e32 v17, 1, v5
	v_lshlrev_b32_e32 v5, 30, v5
	v_cmp_eq_u32_e32 vcc, 0, v17
	v_and_b32_e32 v5, 0x80000000, v5
	v_xor_b32_e32 v3, v3, v2
	v_cndmask_b32_e32 v6, v12, v6, vcc
	v_xor_b32_e32 v3, v3, v5
	v_div_scale_f32 v5, s[0:1], v10, v10, v13
	v_xor_b32_e32 v3, v3, v6
	v_rcp_f32_e32 v6, v5
	s_movk_i32 s3, 0x1f8
	v_mov_b32_e32 v12, 0x7fc00000
	v_cmp_class_f32_e64 s[0:1], v2, s3
	v_mov_b32_e32 v16, 0xbe2aaa9d
	v_mov_b32_e32 v18, 0x3d2aabf7
	v_cndmask_b32_e64 v2, v12, v3, s[0:1]
	v_fma_f32 v3, -v5, v6, 1.0
	v_fmac_f32_e32 v6, v3, v6
	v_div_scale_f32 v3, vcc, v13, v10, v13
	v_mul_f32_e32 v17, v3, v6
	v_fma_f32 v20, -v5, v17, v3
	v_fmac_f32_e32 v17, v20, v6
	v_fma_f32 v3, -v5, v17, v3
	v_mul_f32_e32 v5, v8, v8
	v_fmac_f32_e32 v14, 0xb94c1982, v5
	v_fmac_f32_e32 v16, v5, v14
	;; [unrolled: 1-line block ×3, first 2 shown]
	v_mov_b32_e32 v19, 0xbf000004
	v_div_fmas_f32 v3, v3, v6, v17
	v_mul_f32_e32 v6, v5, v16
	v_fmac_f32_e32 v18, v5, v15
	v_fmac_f32_e32 v8, v8, v6
	;; [unrolled: 1-line block ×3, first 2 shown]
	v_and_b32_e32 v6, 1, v7
	v_fma_f32 v5, v5, v19, 1.0
	v_cmp_eq_u32_e32 vcc, 0, v6
	s_brev_b32 s2, 1
	v_lshlrev_b32_e32 v6, 30, v7
	v_cndmask_b32_e64 v5, -v8, v5, vcc
	v_bitop3_b32 v5, v6, v5, s2 bitop3:0x6c
	v_cndmask_b32_e64 v5, v12, v5, s[0:1]
	s_mov_b32 s0, 0xf800000
	v_mul_f32_e32 v6, 0x4f800000, v1
	v_cmp_gt_f32_e32 vcc, s0, v1
	v_div_fixup_f32 v3, v3, v10, v13
	v_mul_f32_e32 v3, v9, v3
	v_cndmask_b32_e32 v1, v1, v6, vcc
	v_sqrt_f32_e32 v6, v1
	v_mul_f32_e32 v3, v3, v5
	v_fmac_f32_e32 v3, v11, v2
	v_mul_f32_e32 v2, 0x3f4c422a, v3
	v_add_u32_e32 v3, -1, v6
	v_fma_f32 v5, -v3, v6, v1
	v_cmp_ge_f32_e64 s[0:1], 0, v5
	v_add_u32_e32 v5, 1, v6
	s_nop 0
	v_cndmask_b32_e64 v3, v6, v3, s[0:1]
	v_fma_f32 v6, -v5, v6, v1
	v_cmp_lt_f32_e64 s[0:1], 0, v6
	s_nop 1
	v_cndmask_b32_e64 v3, v3, v5, s[0:1]
	v_mul_f32_e32 v5, 0x37800000, v3
	v_cndmask_b32_e32 v3, v3, v5, vcc
	v_mov_b32_e32 v5, 0x260
	v_cmp_class_f32_e32 vcc, v1, v5
	s_nop 1
	v_cndmask_b32_e32 v1, v3, v1, vcc
	v_div_scale_f32 v3, s[0:1], v1, v1, v2
	v_rcp_f32_e32 v5, v3
	s_nop 0
	v_fma_f32 v6, -v3, v5, 1.0
	v_fmac_f32_e32 v5, v6, v5
	v_div_scale_f32 v6, vcc, v2, v1, v2
	v_mul_f32_e32 v7, v6, v5
	v_fma_f32 v8, -v3, v7, v6
	v_fmac_f32_e32 v7, v8, v5
	v_fma_f32 v3, -v3, v7, v6
	v_div_fmas_f32 v3, v3, v5, v7
	v_div_fixup_f32 v2, v3, v1, v2
.LBB19_164:
	s_or_b64 exec, exec, s[6:7]
	v_add_u32_e32 v4, 0x80, v4
	global_store_dword v0, v2, s[16:17]
	s_or_b64 exec, exec, s[48:49]
	v_cmp_gt_i32_e32 vcc, s55, v4
	s_and_saveexec_b64 s[48:49], vcc
	s_cbranch_execnz .LBB19_16
.LBB19_165:
	s_or_b64 exec, exec, s[48:49]
	v_cmp_gt_i32_e32 vcc, s55, v4
	s_and_saveexec_b64 s[48:49], vcc
	s_cbranch_execz .LBB19_198
.LBB19_166:
	s_andn2_b64 vcc, exec, s[36:37]
	s_cbranch_vccnz .LBB19_172
; %bb.167:
	s_andn2_b64 vcc, exec, s[46:47]
	s_cbranch_vccnz .LBB19_173
; %bb.168:
	s_add_i32 s58, s56, 1
	s_cmp_eq_u32 s54, 2
	s_cbranch_scc1 .LBB19_201
; %bb.169:
	s_and_b32 s57, s58, 28
	s_mov_b32 s59, 0
	v_mov_b32_e32 v0, 0
	v_mov_b32_e32 v2, 0
	s_mov_b64 s[50:51], s[34:35]
	s_mov_b64 s[52:53], s[44:45]
	v_mov_b32_e32 v5, v4
.LBB19_170:                             ; =>This Inner Loop Header: Depth=1
	s_load_dwordx8 s[8:15], s[50:51], 0x4
	s_load_dwordx4 s[28:31], s[50:51], 0x24
	s_load_dwordx8 s[0:7], s[52:53], 0x0
	s_add_u32 s50, s50, 48
	s_addc_u32 s51, s51, 0
	s_waitcnt lgkmcnt(0)
	v_mul_hi_u32 v1, s9, v5
	v_add_u32_e32 v1, v5, v1
	v_lshrrev_b32_e32 v1, s10, v1
	v_mul_lo_u32 v3, v1, s8
	v_mul_hi_u32 v6, s12, v1
	v_sub_u32_e32 v3, v5, v3
	v_add_u32_e32 v5, v1, v6
	v_lshrrev_b32_e32 v5, s13, v5
	v_mul_lo_u32 v7, v5, s11
	v_mul_hi_u32 v8, s15, v5
	v_sub_u32_e32 v1, v1, v7
	v_add_u32_e32 v7, v5, v8
	v_mul_lo_u32 v6, v3, s1
	v_mul_lo_u32 v3, v3, s0
	;; [unrolled: 1-line block ×4, first 2 shown]
	v_lshrrev_b32_e32 v7, s28, v7
	v_add3_u32 v0, v3, v0, v1
	v_mul_hi_u32 v3, s30, v7
	v_add3_u32 v1, v6, v2, v8
	v_mul_lo_u32 v2, v7, s14
	v_add_u32_e32 v3, v7, v3
	v_sub_u32_e32 v2, v5, v2
	v_lshrrev_b32_e32 v5, s31, v3
	s_add_i32 s59, s59, 4
	v_mul_lo_u32 v3, v5, s29
	s_add_u32 s52, s52, 32
	v_sub_u32_e32 v3, v7, v3
	s_addc_u32 s53, s53, 0
	v_mul_lo_u32 v6, v2, s4
	v_mul_lo_u32 v2, v2, s5
	;; [unrolled: 1-line block ×4, first 2 shown]
	s_cmp_eq_u32 s57, s59
	v_add3_u32 v2, v2, v1, v3
	v_add3_u32 v0, v6, v0, v7
	s_cbranch_scc0 .LBB19_170
; %bb.171:
	v_mov_b32_e32 v1, v2
	s_branch .LBB19_202
.LBB19_172:
                                        ; implicit-def: $vgpr2
                                        ; implicit-def: $vgpr0
	s_branch .LBB19_206
.LBB19_173:
	v_mov_b32_e32 v2, 0
	v_mov_b32_e32 v0, 0
	s_branch .LBB19_205
.LBB19_174:
	v_mov_b32_e32 v0, 0
	s_mov_b32 s57, 0
	v_mov_b32_e32 v1, v0
                                        ; implicit-def: $vgpr2
	v_mov_b32_e32 v5, v4
.LBB19_175:
	s_and_b32 s4, s58, 3
	s_cmp_eq_u32 s4, 0
	s_cbranch_scc1 .LBB19_178
; %bb.176:
	s_lshl_b32 s0, s57, 3
	s_add_u32 s0, s34, s0
	s_addc_u32 s1, s35, 0
	s_add_u32 s0, s0, 0xc4
	s_addc_u32 s1, s1, 0
	s_mul_i32 s2, s57, 12
	s_add_u32 s2, s34, s2
	s_addc_u32 s3, s35, 0
.LBB19_177:                             ; =>This Inner Loop Header: Depth=1
	s_load_dwordx2 s[6:7], s[2:3], 0x4
	s_load_dword s5, s[2:3], 0xc
	s_load_dwordx2 s[8:9], s[0:1], 0x0
	v_mov_b32_e32 v2, v1
	s_add_u32 s2, s2, 12
	s_waitcnt lgkmcnt(0)
	v_mul_hi_u32 v1, s7, v5
	v_add_u32_e32 v1, v5, v1
	v_lshrrev_b32_e32 v1, s5, v1
	s_addc_u32 s3, s3, 0
	v_mul_lo_u32 v3, v1, s6
	s_add_u32 s0, s0, 8
	v_sub_u32_e32 v6, v5, v3
	s_addc_u32 s1, s1, 0
	s_add_i32 s4, s4, -1
	v_mov_b32_e32 v5, v1
	v_mad_u64_u32 v[2:3], s[6:7], v6, s9, v[2:3]
	v_mad_u64_u32 v[0:1], s[6:7], v6, s8, v[0:1]
	s_cmp_lg_u32 s4, 0
	v_mov_b32_e32 v1, v2
	s_cbranch_scc1 .LBB19_177
.LBB19_178:
	s_cbranch_execnz .LBB19_181
.LBB19_179:
	s_waitcnt lgkmcnt(0)
	v_mul_hi_u32 v0, s25, v4
	v_add_u32_e32 v0, v4, v0
	v_lshrrev_b32_e32 v1, s26, v0
	v_mul_lo_u32 v0, v1, s24
	v_sub_u32_e32 v0, v4, v0
	v_mul_lo_u32 v2, v0, s21
	s_andn2_b64 vcc, exec, s[42:43]
	v_mul_lo_u32 v0, v0, s20
	s_cbranch_vccnz .LBB19_181
; %bb.180:
	v_mul_hi_u32 v3, s40, v1
	v_add_u32_e32 v3, v1, v3
	v_lshrrev_b32_e32 v3, s41, v3
	v_mul_lo_u32 v3, v3, s27
	v_sub_u32_e32 v3, v1, v3
	v_mad_u64_u32 v[0:1], s[0:1], v3, s22, v[0:1]
	v_mad_u64_u32 v[2:3], s[0:1], v3, s23, v[2:3]
.LBB19_181:
	s_waitcnt lgkmcnt(0)
	global_load_dword v1, v2, s[18:19]
	s_mov_b32 s0, 0x40a00000
                                        ; implicit-def: $vgpr2
	s_waitcnt vmcnt(0)
	v_cmp_ge_f32_e32 vcc, s0, v1
	s_and_saveexec_b64 s[0:1], vcc
	s_xor_b64 s[2:3], exec, s[0:1]
	s_cbranch_execz .LBB19_187
; %bb.182:
	v_cmp_neq_f32_e32 vcc, 0, v1
	v_mov_b32_e32 v2, 0xff800000
	s_and_saveexec_b64 s[4:5], vcc
	s_cbranch_execz .LBB19_186
; %bb.183:
	v_cmp_nge_f32_e32 vcc, 0, v1
	v_mov_b32_e32 v2, 0x7fc00000
	s_and_saveexec_b64 s[6:7], vcc
	s_cbranch_execz .LBB19_185
; %bb.184:
	v_mul_f32_e32 v2, v1, v1
	v_mov_b32_e32 v3, 0x4414934d
	v_fmac_f32_e32 v3, 0, v2
	v_fmaak_f32 v3, v2, v3, 0x48660b06
	s_mov_b32 s0, 0x4e9695f3
	v_mul_f32_e32 v6, 0, v2
	v_mul_f32_e32 v7, v2, v3
	s_mov_b32 s1, 0x4c8c277d
	v_pk_add_f32 v[8:9], v[6:7], s[0:1]
	s_mov_b32 s0, 0xd316b96b
	s_mov_b32 s1, 0x508bc61d
	v_pk_fma_f32 v[8:9], v[2:3], v[8:9], s[0:1] op_sel_hi:[0,1,1]
	s_mov_b32 s0, 0x56d04aa6
	s_mov_b32 s1, 0x5461faf8
	v_pk_fma_f32 v[8:9], v[2:3], v[8:9], s[0:1] op_sel_hi:[0,1,1]
	;; [unrolled: 3-line block ×5, first 2 shown]
	v_div_scale_f32 v3, s[0:1], v9, v9, v8
	v_rcp_f32_e32 v5, v3
	s_mov_b32 s0, 0xce5691e2
	s_mov_b32 s1, 0x548a37dc
	v_fma_f32 v7, -v3, v5, 1.0
	v_fmac_f32_e32 v5, v7, v5
	v_div_scale_f32 v7, vcc, v8, v9, v8
	v_mul_f32_e32 v10, v7, v5
	v_fma_f32 v11, -v3, v10, v7
	v_fmac_f32_e32 v10, v11, v5
	v_fma_f32 v3, -v3, v10, v7
	v_mov_b32_e32 v7, 0x441b3589
	v_fmac_f32_e32 v7, 0, v2
	v_fmaak_f32 v7, v2, v7, 0x487af6d0
	v_fmaak_f32 v7, v2, v7, 0x4c9f4aa7
	;; [unrolled: 1-line block ×3, first 2 shown]
	v_mul_f32_e32 v7, v2, v7
	v_pk_add_f32 v[6:7], v[6:7], s[0:1]
	s_mov_b32 s0, 0x52d295d0
	s_mov_b32 s1, 0x58325852
	v_pk_fma_f32 v[6:7], v[2:3], v[6:7], s[0:1] op_sel_hi:[0,1,1]
	s_mov_b32 s0, 0xd6845497
	s_mov_b32 s1, 0x5b9f0600
	v_pk_fma_f32 v[6:7], v[2:3], v[6:7], s[0:1] op_sel_hi:[0,1,1]
	;; [unrolled: 3-line block ×3, first 2 shown]
	v_div_scale_f32 v11, s[0:1], v7, v7, v6
	v_rcp_f32_e32 v12, v11
	v_div_fmas_f32 v3, v3, v5, v10
	v_div_fixup_f32 v5, v3, v9, v8
	s_mov_b32 s0, 0xc244dfb3
	v_fma_f32 v3, -v11, v12, 1.0
	v_fmac_f32_e32 v12, v3, v12
	v_div_scale_f32 v3, vcc, v6, v7, v6
	v_mul_f32_e32 v8, v3, v12
	v_fma_f32 v9, -v11, v8, v3
	v_fmac_f32_e32 v8, v9, v12
	v_fma_f32 v3, -v11, v8, v3
	v_div_fmas_f32 v3, v3, v12, v8
	v_div_fixup_f32 v3, v3, v7, v6
	s_mov_b32 s1, 0xc16ae95a
	v_mul_f32_e32 v6, v1, v3
	v_pk_add_f32 v[2:3], v[2:3], s[0:1] op_sel_hi:[0,1]
	s_mov_b32 s0, 0x800000
	v_cmp_gt_f32_e32 vcc, s0, v1
	v_mul_f32_e32 v3, v3, v6
	v_mul_f32_e32 v2, v2, v3
	v_cndmask_b32_e64 v7, 0, 32, vcc
	v_ldexp_f32 v7, v1, v7
	v_log_f32_e32 v7, v7
	s_mov_b32 s0, 0x3f317217
	v_mov_b32_e32 v8, 0x41b17218
	v_cndmask_b32_e32 v8, 0, v8, vcc
	v_mul_f32_e32 v3, 0x3f317217, v7
	v_fma_f32 v3, v7, s0, -v3
	v_fmamk_f32 v3, v7, 0x3377d1cf, v3
	s_mov_b32 s0, 0x7f800000
	v_fmac_f32_e32 v3, 0x3f317217, v7
	v_cmp_lt_f32_e64 s[0:1], |v7|, s0
	s_nop 1
	v_cndmask_b32_e64 v3, v7, v3, s[0:1]
	v_div_scale_f32 v6, s[0:1], v1, v1, -1.0
	v_rcp_f32_e32 v7, v6
	v_sub_f32_e32 v3, v3, v8
	v_fma_f32 v8, -v6, v7, 1.0
	v_fmac_f32_e32 v7, v8, v7
	v_div_scale_f32 v8, vcc, -1.0, v1, -1.0
	v_mul_f32_e32 v9, v8, v7
	v_fma_f32 v10, -v6, v9, v8
	v_fmac_f32_e32 v9, v10, v7
	v_fma_f32 v6, -v6, v9, v8
	v_div_fmas_f32 v6, v6, v7, v9
	v_div_fixup_f32 v6, v6, v1, -1.0
	v_fmac_f32_e32 v6, v3, v2
	v_mul_f32_e32 v2, 0x3f22f983, v6
	v_fmac_f32_e32 v2, v1, v5
.LBB19_185:
	s_or_b64 exec, exec, s[6:7]
.LBB19_186:
	s_or_b64 exec, exec, s[4:5]
                                        ; implicit-def: $vgpr1
.LBB19_187:
	s_andn2_saveexec_b64 s[6:7], s[2:3]
	s_cbranch_execz .LBB19_197
; %bb.188:
	v_add_f32_e32 v2, 0xc016cbe4, v1
	s_brev_b32 s0, 18
	v_and_b32_e32 v3, 0x7fffffff, v2
	v_cmp_nlt_f32_e64 s[8:9], |v2|, s0
                                        ; implicit-def: $vgpr5
                                        ; implicit-def: $vgpr6
	s_and_saveexec_b64 s[0:1], s[8:9]
	s_xor_b64 s[10:11], exec, s[0:1]
	s_cbranch_execz .LBB19_190
; %bb.189:
	v_lshrrev_b32_e32 v5, 23, v3
	v_add_u32_e32 v5, 0xffffff88, v5
	v_not_b32_e32 v6, 63
	v_cmp_lt_u32_e32 vcc, 63, v5
	s_mov_b32 s4, 0xfe5163ab
	v_mov_b32_e32 v9, 0
	v_cndmask_b32_e32 v6, 0, v6, vcc
	v_add_u32_e32 v5, v6, v5
	v_not_b32_e32 v6, 31
	v_cmp_lt_u32_e64 s[0:1], 31, v5
	s_nop 1
	v_cndmask_b32_e64 v7, 0, v6, s[0:1]
	v_add_u32_e32 v5, v7, v5
	v_cmp_lt_u32_e64 s[2:3], 31, v5
	s_nop 1
	v_cndmask_b32_e64 v6, 0, v6, s[2:3]
	v_add_u32_e32 v5, v6, v5
	v_and_b32_e32 v6, 0x7fffff, v3
	v_or_b32_e32 v20, 0x800000, v6
	v_mad_u64_u32 v[6:7], s[4:5], v20, s4, 0
	v_mov_b32_e32 v8, v7
	s_mov_b32 s4, 0x3c439041
	v_mad_u64_u32 v[10:11], s[4:5], v20, s4, v[8:9]
	v_mov_b32_e32 v8, v11
	s_mov_b32 s4, 0xdb629599
	;; [unrolled: 3-line block ×6, first 2 shown]
	v_mad_u64_u32 v[8:9], s[4:5], v20, s4, v[8:9]
	v_cndmask_b32_e32 v7, v18, v14, vcc
	v_cndmask_b32_e32 v8, v8, v16, vcc
	;; [unrolled: 1-line block ×3, first 2 shown]
	v_cndmask_b32_e64 v11, v8, v7, s[0:1]
	v_cndmask_b32_e64 v8, v9, v8, s[0:1]
	v_cndmask_b32_e32 v9, v16, v12, vcc
	v_cndmask_b32_e64 v7, v7, v9, s[0:1]
	v_cndmask_b32_e64 v8, v8, v11, s[2:3]
	;; [unrolled: 1-line block ×3, first 2 shown]
	v_sub_u32_e32 v13, 32, v5
	v_alignbit_b32 v15, v8, v11, v13
	v_cmp_eq_u32_e64 s[4:5], 0, v5
	v_cndmask_b32_e32 v6, v12, v6, vcc
	s_nop 0
	v_cndmask_b32_e64 v5, v15, v8, s[4:5]
	v_cndmask_b32_e32 v8, v14, v10, vcc
	v_cndmask_b32_e64 v9, v9, v8, s[0:1]
	v_cndmask_b32_e64 v7, v7, v9, s[2:3]
	v_alignbit_b32 v10, v11, v7, v13
	v_cndmask_b32_e64 v10, v10, v11, s[4:5]
	v_bfe_u32 v15, v5, 29, 1
	v_cndmask_b32_e64 v6, v8, v6, s[0:1]
	v_alignbit_b32 v11, v5, v10, 30
	v_sub_u32_e32 v16, 0, v15
	v_cndmask_b32_e64 v6, v9, v6, s[2:3]
	v_xor_b32_e32 v11, v11, v16
	v_alignbit_b32 v8, v7, v6, v13
	v_cndmask_b32_e64 v7, v8, v7, s[4:5]
	v_ffbh_u32_e32 v9, v11
	v_alignbit_b32 v8, v10, v7, 30
	v_min_u32_e32 v9, 32, v9
	v_alignbit_b32 v6, v7, v6, 30
	v_xor_b32_e32 v8, v8, v16
	v_sub_u32_e32 v10, 31, v9
	v_xor_b32_e32 v6, v6, v16
	v_alignbit_b32 v11, v11, v8, v10
	v_alignbit_b32 v6, v8, v6, v10
	;; [unrolled: 1-line block ×3, first 2 shown]
	v_ffbh_u32_e32 v8, v7
	v_min_u32_e32 v8, 32, v8
	v_lshrrev_b32_e32 v14, 29, v5
	v_not_b32_e32 v10, v8
	v_alignbit_b32 v6, v7, v6, v10
	v_lshlrev_b32_e32 v7, 31, v14
	v_or_b32_e32 v10, 0x33000000, v7
	v_add_lshl_u32 v8, v8, v9, 23
	v_lshrrev_b32_e32 v6, 9, v6
	v_sub_u32_e32 v8, v10, v8
	v_or_b32_e32 v7, 0.5, v7
	v_lshlrev_b32_e32 v9, 23, v9
	v_or_b32_e32 v6, v8, v6
	v_lshrrev_b32_e32 v8, 9, v11
	v_sub_u32_e32 v7, v7, v9
	v_or_b32_e32 v7, v8, v7
	s_mov_b32 s0, 0x3fc90fda
	v_mul_f32_e32 v8, 0x3fc90fda, v7
	v_fma_f32 v9, v7, s0, -v8
	v_fmamk_f32 v7, v7, 0x33a22168, v9
	v_fmac_f32_e32 v7, 0x3fc90fda, v6
	v_lshrrev_b32_e32 v5, 30, v5
	v_add_f32_e32 v6, v8, v7
	v_add_u32_e32 v5, v15, v5
	s_andn2_saveexec_b64 s[0:1], s[10:11]
	s_cbranch_execz .LBB19_192
	s_branch .LBB19_191
.LBB19_190:
	s_andn2_saveexec_b64 s[0:1], s[10:11]
	s_cbranch_execz .LBB19_192
.LBB19_191:
	s_mov_b32 s2, 0x3f22f983
	v_mul_f32_e64 v5, |v2|, s2
	v_rndne_f32_e32 v6, v5
	s_mov_b32 s2, 0xbfc90fda
	v_cvt_i32_f32_e32 v5, v6
	v_fma_f32 v7, v6, s2, |v2|
	v_fmamk_f32 v7, v6, 0xb3a22168, v7
	v_fmamk_f32 v6, v6, 0xa7c234c4, v7
.LBB19_192:
	s_or_b64 exec, exec, s[0:1]
                                        ; implicit-def: $vgpr7
                                        ; implicit-def: $vgpr8
	s_and_saveexec_b64 s[0:1], s[8:9]
	s_xor_b64 s[8:9], exec, s[0:1]
	s_cbranch_execz .LBB19_194
; %bb.193:
	v_lshrrev_b32_e32 v7, 23, v3
	v_add_u32_e32 v7, 0xffffff88, v7
	v_not_b32_e32 v8, 63
	v_cmp_lt_u32_e32 vcc, 63, v7
	s_mov_b32 s4, 0xfe5163ab
	v_mov_b32_e32 v11, 0
	v_cndmask_b32_e32 v8, 0, v8, vcc
	v_add_u32_e32 v7, v8, v7
	v_not_b32_e32 v8, 31
	v_cmp_lt_u32_e64 s[0:1], 31, v7
	s_nop 1
	v_cndmask_b32_e64 v9, 0, v8, s[0:1]
	v_add_u32_e32 v7, v9, v7
	v_cmp_lt_u32_e64 s[2:3], 31, v7
	s_nop 1
	v_cndmask_b32_e64 v8, 0, v8, s[2:3]
	v_add_u32_e32 v7, v8, v7
	v_and_b32_e32 v8, 0x7fffff, v3
	v_or_b32_e32 v22, 0x800000, v8
	v_mad_u64_u32 v[8:9], s[4:5], v22, s4, 0
	v_mov_b32_e32 v10, v9
	s_mov_b32 s4, 0x3c439041
	v_mad_u64_u32 v[12:13], s[4:5], v22, s4, v[10:11]
	v_mov_b32_e32 v10, v13
	s_mov_b32 s4, 0xdb629599
	;; [unrolled: 3-line block ×6, first 2 shown]
	v_mad_u64_u32 v[10:11], s[4:5], v22, s4, v[10:11]
	v_cndmask_b32_e32 v9, v20, v16, vcc
	v_cndmask_b32_e32 v10, v10, v18, vcc
	;; [unrolled: 1-line block ×3, first 2 shown]
	v_cndmask_b32_e64 v13, v10, v9, s[0:1]
	v_cndmask_b32_e64 v10, v11, v10, s[0:1]
	v_cndmask_b32_e32 v11, v18, v14, vcc
	v_cndmask_b32_e64 v9, v9, v11, s[0:1]
	v_cndmask_b32_e64 v10, v10, v13, s[2:3]
	;; [unrolled: 1-line block ×3, first 2 shown]
	v_sub_u32_e32 v15, 32, v7
	v_alignbit_b32 v17, v10, v13, v15
	v_cmp_eq_u32_e64 s[4:5], 0, v7
	v_cndmask_b32_e32 v8, v14, v8, vcc
	s_nop 0
	v_cndmask_b32_e64 v7, v17, v10, s[4:5]
	v_cndmask_b32_e32 v10, v16, v12, vcc
	v_cndmask_b32_e64 v11, v11, v10, s[0:1]
	v_cndmask_b32_e64 v9, v9, v11, s[2:3]
	v_alignbit_b32 v12, v13, v9, v15
	v_cndmask_b32_e64 v12, v12, v13, s[4:5]
	v_bfe_u32 v17, v7, 29, 1
	v_cndmask_b32_e64 v8, v10, v8, s[0:1]
	v_alignbit_b32 v13, v7, v12, 30
	v_sub_u32_e32 v18, 0, v17
	v_cndmask_b32_e64 v8, v11, v8, s[2:3]
	v_xor_b32_e32 v13, v13, v18
	v_alignbit_b32 v10, v9, v8, v15
	v_cndmask_b32_e64 v9, v10, v9, s[4:5]
	v_ffbh_u32_e32 v11, v13
	v_alignbit_b32 v10, v12, v9, 30
	v_min_u32_e32 v11, 32, v11
	v_alignbit_b32 v8, v9, v8, 30
	v_xor_b32_e32 v10, v10, v18
	v_sub_u32_e32 v12, 31, v11
	v_xor_b32_e32 v8, v8, v18
	v_alignbit_b32 v13, v13, v10, v12
	v_alignbit_b32 v8, v10, v8, v12
	;; [unrolled: 1-line block ×3, first 2 shown]
	v_ffbh_u32_e32 v10, v9
	v_min_u32_e32 v10, 32, v10
	v_lshrrev_b32_e32 v16, 29, v7
	v_not_b32_e32 v12, v10
	v_alignbit_b32 v8, v9, v8, v12
	v_lshlrev_b32_e32 v9, 31, v16
	v_or_b32_e32 v12, 0x33000000, v9
	v_add_lshl_u32 v10, v10, v11, 23
	v_lshrrev_b32_e32 v8, 9, v8
	v_sub_u32_e32 v10, v12, v10
	v_or_b32_e32 v9, 0.5, v9
	v_lshlrev_b32_e32 v11, 23, v11
	v_or_b32_e32 v8, v10, v8
	v_lshrrev_b32_e32 v10, 9, v13
	v_sub_u32_e32 v9, v9, v11
	v_or_b32_e32 v9, v10, v9
	s_mov_b32 s0, 0x3fc90fda
	v_mul_f32_e32 v10, 0x3fc90fda, v9
	v_fma_f32 v11, v9, s0, -v10
	v_fmamk_f32 v9, v9, 0x33a22168, v11
	v_fmac_f32_e32 v9, 0x3fc90fda, v8
	v_lshrrev_b32_e32 v7, 30, v7
	v_add_f32_e32 v8, v10, v9
	v_add_u32_e32 v7, v17, v7
	s_andn2_saveexec_b64 s[0:1], s[8:9]
	s_cbranch_execnz .LBB19_195
	s_branch .LBB19_196
.LBB19_194:
	s_andn2_saveexec_b64 s[0:1], s[8:9]
	s_cbranch_execz .LBB19_196
.LBB19_195:
	s_mov_b32 s2, 0x3f22f983
	v_mul_f32_e64 v7, |v2|, s2
	v_rndne_f32_e32 v8, v7
	s_mov_b32 s2, 0xbfc90fda
	v_cvt_i32_f32_e32 v7, v8
	v_fma_f32 v9, v8, s2, |v2|
	v_fmamk_f32 v9, v8, 0xb3a22168, v9
	v_fmamk_f32 v8, v8, 0xa7c234c4, v9
.LBB19_196:
	s_or_b64 exec, exec, s[0:1]
	s_mov_b32 s2, 0x40a00000
	v_div_scale_f32 v9, s[0:1], v1, v1, s2
	v_rcp_f32_e32 v10, v9
	v_div_scale_f32 v11, vcc, s2, v1, s2
	v_mov_b32_e32 v14, 0x42947983
	v_fma_f32 v12, -v9, v10, 1.0
	v_fmac_f32_e32 v10, v12, v10
	v_mul_f32_e32 v12, v11, v10
	v_fma_f32 v13, -v9, v12, v11
	v_fmac_f32_e32 v12, v13, v10
	v_fma_f32 v9, -v9, v12, v11
	v_div_fmas_f32 v9, v9, v10, v12
	v_div_fixup_f32 v9, v9, v1, s2
	v_mul_f32_e32 v10, v9, v9
	v_mov_b32_e32 v11, 0x3a47c962
	v_mov_b32_e32 v12, 0x3a15c4d9
	v_fmac_f32_e32 v11, 0, v10
	v_fmac_f32_e32 v12, 0, v10
	v_fmaak_f32 v11, v10, v11, 0x3d95ca45
	v_fmaak_f32 v12, v10, v12, 0x3d8cfeeb
	;; [unrolled: 1-line block ×8, first 2 shown]
	v_mov_b32_e32 v13, 0x3d513fd3
	v_fmaak_f32 v11, v10, v11, 0x40a6dd51
	v_fmaak_f32 v12, v10, v12, 0x40a6b6ea
	v_fmac_f32_e32 v13, 0, v10
	v_fma_f32 v12, v10, v12, 1.0
	v_fmaak_f32 v13, v10, v13, 0x409f6dae
	v_fmac_f32_e32 v14, 0, v10
	v_fma_f32 v11, v10, v11, 1.0
	v_fmaak_f32 v13, v10, v13, 0x4297a5cd
	v_fmaak_f32 v14, v10, v14, 0x44840e5d
	v_div_scale_f32 v15, s[0:1], v12, v12, v11
	v_fmaak_f32 v13, v10, v13, 0x43b763ca
	v_fmaak_f32 v14, v10, v14, 0x459bd349
	v_rcp_f32_e32 v16, v15
	v_fmaak_f32 v13, v10, v13, 0x4431b6ce
	v_fmaak_f32 v14, v10, v14, 0x46156947
	;; [unrolled: 1-line block ×8, first 2 shown]
	v_fma_f32 v14, -v15, v16, 1.0
	v_fmac_f32_e32 v16, v14, v16
	v_div_scale_f32 v14, vcc, v11, v12, v11
	v_mul_f32_e32 v17, v14, v16
	v_fma_f32 v18, -v15, v17, v14
	v_fmac_f32_e32 v17, v18, v16
	v_fma_f32 v14, -v15, v17, v14
	v_div_fmas_f32 v14, v14, v16, v17
	v_div_fixup_f32 v11, v14, v12, v11
	v_mul_f32_e32 v12, v6, v6
	v_mov_b32_e32 v14, 0x3c0881c4
	v_fmamk_f32 v15, v12, 0xb94c1982, v14
	v_fmaak_f32 v15, v12, v15, 0xbe2aaa9d
	v_mul_f32_e32 v15, v12, v15
	v_fmac_f32_e32 v6, v6, v15
	v_mov_b32_e32 v15, 0xbab64f3b
	v_fmamk_f32 v17, v12, 0x37d75334, v15
	v_fmaak_f32 v17, v12, v17, 0x3d2aabf7
	v_fmaak_f32 v17, v12, v17, 0xbf000004
	v_fma_f32 v12, v12, v17, 1.0
	v_and_b32_e32 v17, 1, v5
	v_lshlrev_b32_e32 v5, 30, v5
	v_cmp_eq_u32_e32 vcc, 0, v17
	v_and_b32_e32 v5, 0x80000000, v5
	v_xor_b32_e32 v3, v3, v2
	v_cndmask_b32_e32 v6, v12, v6, vcc
	v_xor_b32_e32 v3, v3, v5
	v_div_scale_f32 v5, s[0:1], v10, v10, v13
	v_xor_b32_e32 v3, v3, v6
	v_rcp_f32_e32 v6, v5
	s_movk_i32 s3, 0x1f8
	v_mov_b32_e32 v12, 0x7fc00000
	v_cmp_class_f32_e64 s[0:1], v2, s3
	v_mov_b32_e32 v16, 0xbe2aaa9d
	v_mov_b32_e32 v18, 0x3d2aabf7
	v_cndmask_b32_e64 v2, v12, v3, s[0:1]
	v_fma_f32 v3, -v5, v6, 1.0
	v_fmac_f32_e32 v6, v3, v6
	v_div_scale_f32 v3, vcc, v13, v10, v13
	v_mul_f32_e32 v17, v3, v6
	v_fma_f32 v20, -v5, v17, v3
	v_fmac_f32_e32 v17, v20, v6
	v_fma_f32 v3, -v5, v17, v3
	v_mul_f32_e32 v5, v8, v8
	v_fmac_f32_e32 v14, 0xb94c1982, v5
	v_fmac_f32_e32 v16, v5, v14
	;; [unrolled: 1-line block ×3, first 2 shown]
	v_mov_b32_e32 v19, 0xbf000004
	v_div_fmas_f32 v3, v3, v6, v17
	v_mul_f32_e32 v6, v5, v16
	v_fmac_f32_e32 v18, v5, v15
	v_fmac_f32_e32 v8, v8, v6
	;; [unrolled: 1-line block ×3, first 2 shown]
	v_and_b32_e32 v6, 1, v7
	v_fma_f32 v5, v5, v19, 1.0
	v_cmp_eq_u32_e32 vcc, 0, v6
	s_brev_b32 s2, 1
	v_lshlrev_b32_e32 v6, 30, v7
	v_cndmask_b32_e64 v5, -v8, v5, vcc
	v_bitop3_b32 v5, v6, v5, s2 bitop3:0x6c
	v_cndmask_b32_e64 v5, v12, v5, s[0:1]
	s_mov_b32 s0, 0xf800000
	v_mul_f32_e32 v6, 0x4f800000, v1
	v_cmp_gt_f32_e32 vcc, s0, v1
	v_div_fixup_f32 v3, v3, v10, v13
	v_mul_f32_e32 v3, v9, v3
	v_cndmask_b32_e32 v1, v1, v6, vcc
	v_sqrt_f32_e32 v6, v1
	v_mul_f32_e32 v3, v3, v5
	v_fmac_f32_e32 v3, v11, v2
	v_mul_f32_e32 v2, 0x3f4c422a, v3
	v_add_u32_e32 v3, -1, v6
	v_fma_f32 v5, -v3, v6, v1
	v_cmp_ge_f32_e64 s[0:1], 0, v5
	v_add_u32_e32 v5, 1, v6
	s_nop 0
	v_cndmask_b32_e64 v3, v6, v3, s[0:1]
	v_fma_f32 v6, -v5, v6, v1
	v_cmp_lt_f32_e64 s[0:1], 0, v6
	s_nop 1
	v_cndmask_b32_e64 v3, v3, v5, s[0:1]
	v_mul_f32_e32 v5, 0x37800000, v3
	v_cndmask_b32_e32 v3, v3, v5, vcc
	v_mov_b32_e32 v5, 0x260
	v_cmp_class_f32_e32 vcc, v1, v5
	s_nop 1
	v_cndmask_b32_e32 v1, v3, v1, vcc
	v_div_scale_f32 v3, s[0:1], v1, v1, v2
	v_rcp_f32_e32 v5, v3
	s_nop 0
	v_fma_f32 v6, -v3, v5, 1.0
	v_fmac_f32_e32 v5, v6, v5
	v_div_scale_f32 v6, vcc, v2, v1, v2
	v_mul_f32_e32 v7, v6, v5
	v_fma_f32 v8, -v3, v7, v6
	v_fmac_f32_e32 v7, v8, v5
	v_fma_f32 v3, -v3, v7, v6
	v_div_fmas_f32 v3, v3, v5, v7
	v_div_fixup_f32 v2, v3, v1, v2
.LBB19_197:
	s_or_b64 exec, exec, s[6:7]
	v_add_u32_e32 v4, 0x80, v4
	global_store_dword v0, v2, s[16:17]
	s_or_b64 exec, exec, s[48:49]
	v_cmp_gt_i32_e32 vcc, s55, v4
	s_and_saveexec_b64 s[48:49], vcc
	s_cbranch_execnz .LBB19_166
.LBB19_198:
	s_or_b64 exec, exec, s[48:49]
	v_cmp_gt_i32_e32 vcc, s55, v4
	s_and_saveexec_b64 s[48:49], vcc
	s_cbranch_execnz .LBB19_225
.LBB19_199:
	s_or_b64 exec, exec, s[48:49]
                                        ; implicit-def: $vgpr16
                                        ; implicit-def: $vgpr4
	s_andn2_saveexec_b64 s[0:1], s[38:39]
	s_cbranch_execnz .LBB19_9
.LBB19_200:
	s_endpgm
.LBB19_201:
	v_mov_b32_e32 v0, 0
	s_mov_b32 s57, 0
	v_mov_b32_e32 v1, v0
                                        ; implicit-def: $vgpr2
	v_mov_b32_e32 v5, v4
.LBB19_202:
	s_and_b32 s4, s58, 3
	s_cmp_eq_u32 s4, 0
	s_cbranch_scc1 .LBB19_205
; %bb.203:
	s_lshl_b32 s0, s57, 3
	s_add_u32 s0, s34, s0
	s_addc_u32 s1, s35, 0
	s_add_u32 s0, s0, 0xc4
	s_addc_u32 s1, s1, 0
	s_mul_i32 s2, s57, 12
	s_add_u32 s2, s34, s2
	s_addc_u32 s3, s35, 0
.LBB19_204:                             ; =>This Inner Loop Header: Depth=1
	s_load_dwordx2 s[6:7], s[2:3], 0x4
	s_load_dword s5, s[2:3], 0xc
	s_load_dwordx2 s[8:9], s[0:1], 0x0
	v_mov_b32_e32 v2, v1
	s_add_u32 s2, s2, 12
	s_waitcnt lgkmcnt(0)
	v_mul_hi_u32 v1, s7, v5
	v_add_u32_e32 v1, v5, v1
	v_lshrrev_b32_e32 v1, s5, v1
	s_addc_u32 s3, s3, 0
	v_mul_lo_u32 v3, v1, s6
	s_add_u32 s0, s0, 8
	v_sub_u32_e32 v6, v5, v3
	s_addc_u32 s1, s1, 0
	s_add_i32 s4, s4, -1
	v_mov_b32_e32 v5, v1
	v_mad_u64_u32 v[2:3], s[6:7], v6, s9, v[2:3]
	v_mad_u64_u32 v[0:1], s[6:7], v6, s8, v[0:1]
	s_cmp_lg_u32 s4, 0
	v_mov_b32_e32 v1, v2
	s_cbranch_scc1 .LBB19_204
.LBB19_205:
	s_cbranch_execnz .LBB19_208
.LBB19_206:
	s_waitcnt lgkmcnt(0)
	v_mul_hi_u32 v0, s25, v4
	v_add_u32_e32 v0, v4, v0
	v_lshrrev_b32_e32 v1, s26, v0
	v_mul_lo_u32 v0, v1, s24
	v_sub_u32_e32 v0, v4, v0
	v_mul_lo_u32 v2, v0, s21
	s_andn2_b64 vcc, exec, s[42:43]
	v_mul_lo_u32 v0, v0, s20
	s_cbranch_vccnz .LBB19_208
; %bb.207:
	v_mul_hi_u32 v3, s40, v1
	v_add_u32_e32 v3, v1, v3
	v_lshrrev_b32_e32 v3, s41, v3
	v_mul_lo_u32 v3, v3, s27
	v_sub_u32_e32 v3, v1, v3
	v_mad_u64_u32 v[0:1], s[0:1], v3, s22, v[0:1]
	v_mad_u64_u32 v[2:3], s[0:1], v3, s23, v[2:3]
.LBB19_208:
	s_waitcnt lgkmcnt(0)
	global_load_dword v1, v2, s[18:19]
	s_mov_b32 s0, 0x40a00000
                                        ; implicit-def: $vgpr2
	s_waitcnt vmcnt(0)
	v_cmp_ge_f32_e32 vcc, s0, v1
	s_and_saveexec_b64 s[0:1], vcc
	s_xor_b64 s[2:3], exec, s[0:1]
	s_cbranch_execz .LBB19_214
; %bb.209:
	v_cmp_neq_f32_e32 vcc, 0, v1
	v_mov_b32_e32 v2, 0xff800000
	s_and_saveexec_b64 s[4:5], vcc
	s_cbranch_execz .LBB19_213
; %bb.210:
	v_cmp_nge_f32_e32 vcc, 0, v1
	v_mov_b32_e32 v2, 0x7fc00000
	s_and_saveexec_b64 s[6:7], vcc
	s_cbranch_execz .LBB19_212
; %bb.211:
	v_mul_f32_e32 v2, v1, v1
	v_mov_b32_e32 v3, 0x4414934d
	v_fmac_f32_e32 v3, 0, v2
	v_fmaak_f32 v3, v2, v3, 0x48660b06
	s_mov_b32 s0, 0x4e9695f3
	v_mul_f32_e32 v6, 0, v2
	v_mul_f32_e32 v7, v2, v3
	s_mov_b32 s1, 0x4c8c277d
	v_pk_add_f32 v[8:9], v[6:7], s[0:1]
	s_mov_b32 s0, 0xd316b96b
	s_mov_b32 s1, 0x508bc61d
	v_pk_fma_f32 v[8:9], v[2:3], v[8:9], s[0:1] op_sel_hi:[0,1,1]
	s_mov_b32 s0, 0x56d04aa6
	s_mov_b32 s1, 0x5461faf8
	v_pk_fma_f32 v[8:9], v[2:3], v[8:9], s[0:1] op_sel_hi:[0,1,1]
	;; [unrolled: 3-line block ×5, first 2 shown]
	v_div_scale_f32 v3, s[0:1], v9, v9, v8
	v_rcp_f32_e32 v5, v3
	s_mov_b32 s0, 0xce5691e2
	s_mov_b32 s1, 0x548a37dc
	v_fma_f32 v7, -v3, v5, 1.0
	v_fmac_f32_e32 v5, v7, v5
	v_div_scale_f32 v7, vcc, v8, v9, v8
	v_mul_f32_e32 v10, v7, v5
	v_fma_f32 v11, -v3, v10, v7
	v_fmac_f32_e32 v10, v11, v5
	v_fma_f32 v3, -v3, v10, v7
	v_mov_b32_e32 v7, 0x441b3589
	v_fmac_f32_e32 v7, 0, v2
	v_fmaak_f32 v7, v2, v7, 0x487af6d0
	v_fmaak_f32 v7, v2, v7, 0x4c9f4aa7
	;; [unrolled: 1-line block ×3, first 2 shown]
	v_mul_f32_e32 v7, v2, v7
	v_pk_add_f32 v[6:7], v[6:7], s[0:1]
	s_mov_b32 s0, 0x52d295d0
	s_mov_b32 s1, 0x58325852
	v_pk_fma_f32 v[6:7], v[2:3], v[6:7], s[0:1] op_sel_hi:[0,1,1]
	s_mov_b32 s0, 0xd6845497
	s_mov_b32 s1, 0x5b9f0600
	v_pk_fma_f32 v[6:7], v[2:3], v[6:7], s[0:1] op_sel_hi:[0,1,1]
	;; [unrolled: 3-line block ×3, first 2 shown]
	v_div_scale_f32 v11, s[0:1], v7, v7, v6
	v_rcp_f32_e32 v12, v11
	v_div_fmas_f32 v3, v3, v5, v10
	v_div_fixup_f32 v5, v3, v9, v8
	s_mov_b32 s0, 0xc244dfb3
	v_fma_f32 v3, -v11, v12, 1.0
	v_fmac_f32_e32 v12, v3, v12
	v_div_scale_f32 v3, vcc, v6, v7, v6
	v_mul_f32_e32 v8, v3, v12
	v_fma_f32 v9, -v11, v8, v3
	v_fmac_f32_e32 v8, v9, v12
	v_fma_f32 v3, -v11, v8, v3
	v_div_fmas_f32 v3, v3, v12, v8
	v_div_fixup_f32 v3, v3, v7, v6
	s_mov_b32 s1, 0xc16ae95a
	v_mul_f32_e32 v6, v1, v3
	v_pk_add_f32 v[2:3], v[2:3], s[0:1] op_sel_hi:[0,1]
	s_mov_b32 s0, 0x800000
	v_cmp_gt_f32_e32 vcc, s0, v1
	v_mul_f32_e32 v3, v3, v6
	v_mul_f32_e32 v2, v2, v3
	v_cndmask_b32_e64 v7, 0, 32, vcc
	v_ldexp_f32 v7, v1, v7
	v_log_f32_e32 v7, v7
	s_mov_b32 s0, 0x3f317217
	v_mov_b32_e32 v8, 0x41b17218
	v_cndmask_b32_e32 v8, 0, v8, vcc
	v_mul_f32_e32 v3, 0x3f317217, v7
	v_fma_f32 v3, v7, s0, -v3
	v_fmamk_f32 v3, v7, 0x3377d1cf, v3
	s_mov_b32 s0, 0x7f800000
	v_fmac_f32_e32 v3, 0x3f317217, v7
	v_cmp_lt_f32_e64 s[0:1], |v7|, s0
	s_nop 1
	v_cndmask_b32_e64 v3, v7, v3, s[0:1]
	v_div_scale_f32 v6, s[0:1], v1, v1, -1.0
	v_rcp_f32_e32 v7, v6
	v_sub_f32_e32 v3, v3, v8
	v_fma_f32 v8, -v6, v7, 1.0
	v_fmac_f32_e32 v7, v8, v7
	v_div_scale_f32 v8, vcc, -1.0, v1, -1.0
	v_mul_f32_e32 v9, v8, v7
	v_fma_f32 v10, -v6, v9, v8
	v_fmac_f32_e32 v9, v10, v7
	v_fma_f32 v6, -v6, v9, v8
	v_div_fmas_f32 v6, v6, v7, v9
	v_div_fixup_f32 v6, v6, v1, -1.0
	v_fmac_f32_e32 v6, v3, v2
	v_mul_f32_e32 v2, 0x3f22f983, v6
	v_fmac_f32_e32 v2, v1, v5
.LBB19_212:
	s_or_b64 exec, exec, s[6:7]
.LBB19_213:
	s_or_b64 exec, exec, s[4:5]
                                        ; implicit-def: $vgpr1
.LBB19_214:
	s_andn2_saveexec_b64 s[6:7], s[2:3]
	s_cbranch_execz .LBB19_224
; %bb.215:
	v_add_f32_e32 v2, 0xc016cbe4, v1
	s_brev_b32 s0, 18
	v_and_b32_e32 v3, 0x7fffffff, v2
	v_cmp_nlt_f32_e64 s[8:9], |v2|, s0
                                        ; implicit-def: $vgpr5
                                        ; implicit-def: $vgpr6
	s_and_saveexec_b64 s[0:1], s[8:9]
	s_xor_b64 s[10:11], exec, s[0:1]
	s_cbranch_execz .LBB19_217
; %bb.216:
	v_lshrrev_b32_e32 v5, 23, v3
	v_add_u32_e32 v5, 0xffffff88, v5
	v_not_b32_e32 v6, 63
	v_cmp_lt_u32_e32 vcc, 63, v5
	s_mov_b32 s4, 0xfe5163ab
	v_mov_b32_e32 v9, 0
	v_cndmask_b32_e32 v6, 0, v6, vcc
	v_add_u32_e32 v5, v6, v5
	v_not_b32_e32 v6, 31
	v_cmp_lt_u32_e64 s[0:1], 31, v5
	s_nop 1
	v_cndmask_b32_e64 v7, 0, v6, s[0:1]
	v_add_u32_e32 v5, v7, v5
	v_cmp_lt_u32_e64 s[2:3], 31, v5
	s_nop 1
	v_cndmask_b32_e64 v6, 0, v6, s[2:3]
	v_add_u32_e32 v5, v6, v5
	v_and_b32_e32 v6, 0x7fffff, v3
	v_or_b32_e32 v20, 0x800000, v6
	v_mad_u64_u32 v[6:7], s[4:5], v20, s4, 0
	v_mov_b32_e32 v8, v7
	s_mov_b32 s4, 0x3c439041
	v_mad_u64_u32 v[10:11], s[4:5], v20, s4, v[8:9]
	v_mov_b32_e32 v8, v11
	s_mov_b32 s4, 0xdb629599
	;; [unrolled: 3-line block ×6, first 2 shown]
	v_mad_u64_u32 v[8:9], s[4:5], v20, s4, v[8:9]
	v_cndmask_b32_e32 v7, v18, v14, vcc
	v_cndmask_b32_e32 v8, v8, v16, vcc
	;; [unrolled: 1-line block ×3, first 2 shown]
	v_cndmask_b32_e64 v11, v8, v7, s[0:1]
	v_cndmask_b32_e64 v8, v9, v8, s[0:1]
	v_cndmask_b32_e32 v9, v16, v12, vcc
	v_cndmask_b32_e64 v7, v7, v9, s[0:1]
	v_cndmask_b32_e64 v8, v8, v11, s[2:3]
	;; [unrolled: 1-line block ×3, first 2 shown]
	v_sub_u32_e32 v13, 32, v5
	v_alignbit_b32 v15, v8, v11, v13
	v_cmp_eq_u32_e64 s[4:5], 0, v5
	v_cndmask_b32_e32 v6, v12, v6, vcc
	s_nop 0
	v_cndmask_b32_e64 v5, v15, v8, s[4:5]
	v_cndmask_b32_e32 v8, v14, v10, vcc
	v_cndmask_b32_e64 v9, v9, v8, s[0:1]
	v_cndmask_b32_e64 v7, v7, v9, s[2:3]
	v_alignbit_b32 v10, v11, v7, v13
	v_cndmask_b32_e64 v10, v10, v11, s[4:5]
	v_bfe_u32 v15, v5, 29, 1
	v_cndmask_b32_e64 v6, v8, v6, s[0:1]
	v_alignbit_b32 v11, v5, v10, 30
	v_sub_u32_e32 v16, 0, v15
	v_cndmask_b32_e64 v6, v9, v6, s[2:3]
	v_xor_b32_e32 v11, v11, v16
	v_alignbit_b32 v8, v7, v6, v13
	v_cndmask_b32_e64 v7, v8, v7, s[4:5]
	v_ffbh_u32_e32 v9, v11
	v_alignbit_b32 v8, v10, v7, 30
	v_min_u32_e32 v9, 32, v9
	v_alignbit_b32 v6, v7, v6, 30
	v_xor_b32_e32 v8, v8, v16
	v_sub_u32_e32 v10, 31, v9
	v_xor_b32_e32 v6, v6, v16
	v_alignbit_b32 v11, v11, v8, v10
	v_alignbit_b32 v6, v8, v6, v10
	;; [unrolled: 1-line block ×3, first 2 shown]
	v_ffbh_u32_e32 v8, v7
	v_min_u32_e32 v8, 32, v8
	v_lshrrev_b32_e32 v14, 29, v5
	v_not_b32_e32 v10, v8
	v_alignbit_b32 v6, v7, v6, v10
	v_lshlrev_b32_e32 v7, 31, v14
	v_or_b32_e32 v10, 0x33000000, v7
	v_add_lshl_u32 v8, v8, v9, 23
	v_lshrrev_b32_e32 v6, 9, v6
	v_sub_u32_e32 v8, v10, v8
	v_or_b32_e32 v7, 0.5, v7
	v_lshlrev_b32_e32 v9, 23, v9
	v_or_b32_e32 v6, v8, v6
	v_lshrrev_b32_e32 v8, 9, v11
	v_sub_u32_e32 v7, v7, v9
	v_or_b32_e32 v7, v8, v7
	s_mov_b32 s0, 0x3fc90fda
	v_mul_f32_e32 v8, 0x3fc90fda, v7
	v_fma_f32 v9, v7, s0, -v8
	v_fmamk_f32 v7, v7, 0x33a22168, v9
	v_fmac_f32_e32 v7, 0x3fc90fda, v6
	v_lshrrev_b32_e32 v5, 30, v5
	v_add_f32_e32 v6, v8, v7
	v_add_u32_e32 v5, v15, v5
	s_andn2_saveexec_b64 s[0:1], s[10:11]
	s_cbranch_execz .LBB19_219
	s_branch .LBB19_218
.LBB19_217:
	s_andn2_saveexec_b64 s[0:1], s[10:11]
	s_cbranch_execz .LBB19_219
.LBB19_218:
	s_mov_b32 s2, 0x3f22f983
	v_mul_f32_e64 v5, |v2|, s2
	v_rndne_f32_e32 v6, v5
	s_mov_b32 s2, 0xbfc90fda
	v_cvt_i32_f32_e32 v5, v6
	v_fma_f32 v7, v6, s2, |v2|
	v_fmamk_f32 v7, v6, 0xb3a22168, v7
	v_fmamk_f32 v6, v6, 0xa7c234c4, v7
.LBB19_219:
	s_or_b64 exec, exec, s[0:1]
                                        ; implicit-def: $vgpr7
                                        ; implicit-def: $vgpr8
	s_and_saveexec_b64 s[0:1], s[8:9]
	s_xor_b64 s[8:9], exec, s[0:1]
	s_cbranch_execz .LBB19_221
; %bb.220:
	v_lshrrev_b32_e32 v7, 23, v3
	v_add_u32_e32 v7, 0xffffff88, v7
	v_not_b32_e32 v8, 63
	v_cmp_lt_u32_e32 vcc, 63, v7
	s_mov_b32 s4, 0xfe5163ab
	v_mov_b32_e32 v11, 0
	v_cndmask_b32_e32 v8, 0, v8, vcc
	v_add_u32_e32 v7, v8, v7
	v_not_b32_e32 v8, 31
	v_cmp_lt_u32_e64 s[0:1], 31, v7
	s_nop 1
	v_cndmask_b32_e64 v9, 0, v8, s[0:1]
	v_add_u32_e32 v7, v9, v7
	v_cmp_lt_u32_e64 s[2:3], 31, v7
	s_nop 1
	v_cndmask_b32_e64 v8, 0, v8, s[2:3]
	v_add_u32_e32 v7, v8, v7
	v_and_b32_e32 v8, 0x7fffff, v3
	v_or_b32_e32 v22, 0x800000, v8
	v_mad_u64_u32 v[8:9], s[4:5], v22, s4, 0
	v_mov_b32_e32 v10, v9
	s_mov_b32 s4, 0x3c439041
	v_mad_u64_u32 v[12:13], s[4:5], v22, s4, v[10:11]
	v_mov_b32_e32 v10, v13
	s_mov_b32 s4, 0xdb629599
	;; [unrolled: 3-line block ×6, first 2 shown]
	v_mad_u64_u32 v[10:11], s[4:5], v22, s4, v[10:11]
	v_cndmask_b32_e32 v9, v20, v16, vcc
	v_cndmask_b32_e32 v10, v10, v18, vcc
	;; [unrolled: 1-line block ×3, first 2 shown]
	v_cndmask_b32_e64 v13, v10, v9, s[0:1]
	v_cndmask_b32_e64 v10, v11, v10, s[0:1]
	v_cndmask_b32_e32 v11, v18, v14, vcc
	v_cndmask_b32_e64 v9, v9, v11, s[0:1]
	v_cndmask_b32_e64 v10, v10, v13, s[2:3]
	;; [unrolled: 1-line block ×3, first 2 shown]
	v_sub_u32_e32 v15, 32, v7
	v_alignbit_b32 v17, v10, v13, v15
	v_cmp_eq_u32_e64 s[4:5], 0, v7
	v_cndmask_b32_e32 v8, v14, v8, vcc
	s_nop 0
	v_cndmask_b32_e64 v7, v17, v10, s[4:5]
	v_cndmask_b32_e32 v10, v16, v12, vcc
	v_cndmask_b32_e64 v11, v11, v10, s[0:1]
	v_cndmask_b32_e64 v9, v9, v11, s[2:3]
	v_alignbit_b32 v12, v13, v9, v15
	v_cndmask_b32_e64 v12, v12, v13, s[4:5]
	v_bfe_u32 v17, v7, 29, 1
	v_cndmask_b32_e64 v8, v10, v8, s[0:1]
	v_alignbit_b32 v13, v7, v12, 30
	v_sub_u32_e32 v18, 0, v17
	v_cndmask_b32_e64 v8, v11, v8, s[2:3]
	v_xor_b32_e32 v13, v13, v18
	v_alignbit_b32 v10, v9, v8, v15
	v_cndmask_b32_e64 v9, v10, v9, s[4:5]
	v_ffbh_u32_e32 v11, v13
	v_alignbit_b32 v10, v12, v9, 30
	v_min_u32_e32 v11, 32, v11
	v_alignbit_b32 v8, v9, v8, 30
	v_xor_b32_e32 v10, v10, v18
	v_sub_u32_e32 v12, 31, v11
	v_xor_b32_e32 v8, v8, v18
	v_alignbit_b32 v13, v13, v10, v12
	v_alignbit_b32 v8, v10, v8, v12
	;; [unrolled: 1-line block ×3, first 2 shown]
	v_ffbh_u32_e32 v10, v9
	v_min_u32_e32 v10, 32, v10
	v_lshrrev_b32_e32 v16, 29, v7
	v_not_b32_e32 v12, v10
	v_alignbit_b32 v8, v9, v8, v12
	v_lshlrev_b32_e32 v9, 31, v16
	v_or_b32_e32 v12, 0x33000000, v9
	v_add_lshl_u32 v10, v10, v11, 23
	v_lshrrev_b32_e32 v8, 9, v8
	v_sub_u32_e32 v10, v12, v10
	v_or_b32_e32 v9, 0.5, v9
	v_lshlrev_b32_e32 v11, 23, v11
	v_or_b32_e32 v8, v10, v8
	v_lshrrev_b32_e32 v10, 9, v13
	v_sub_u32_e32 v9, v9, v11
	v_or_b32_e32 v9, v10, v9
	s_mov_b32 s0, 0x3fc90fda
	v_mul_f32_e32 v10, 0x3fc90fda, v9
	v_fma_f32 v11, v9, s0, -v10
	v_fmamk_f32 v9, v9, 0x33a22168, v11
	v_fmac_f32_e32 v9, 0x3fc90fda, v8
	v_lshrrev_b32_e32 v7, 30, v7
	v_add_f32_e32 v8, v10, v9
	v_add_u32_e32 v7, v17, v7
	s_andn2_saveexec_b64 s[0:1], s[8:9]
	s_cbranch_execnz .LBB19_222
	s_branch .LBB19_223
.LBB19_221:
	s_andn2_saveexec_b64 s[0:1], s[8:9]
	s_cbranch_execz .LBB19_223
.LBB19_222:
	s_mov_b32 s2, 0x3f22f983
	v_mul_f32_e64 v7, |v2|, s2
	v_rndne_f32_e32 v8, v7
	s_mov_b32 s2, 0xbfc90fda
	v_cvt_i32_f32_e32 v7, v8
	v_fma_f32 v9, v8, s2, |v2|
	v_fmamk_f32 v9, v8, 0xb3a22168, v9
	v_fmamk_f32 v8, v8, 0xa7c234c4, v9
.LBB19_223:
	s_or_b64 exec, exec, s[0:1]
	s_mov_b32 s2, 0x40a00000
	v_div_scale_f32 v9, s[0:1], v1, v1, s2
	v_rcp_f32_e32 v10, v9
	v_div_scale_f32 v11, vcc, s2, v1, s2
	v_mov_b32_e32 v14, 0x42947983
	v_fma_f32 v12, -v9, v10, 1.0
	v_fmac_f32_e32 v10, v12, v10
	v_mul_f32_e32 v12, v11, v10
	v_fma_f32 v13, -v9, v12, v11
	v_fmac_f32_e32 v12, v13, v10
	v_fma_f32 v9, -v9, v12, v11
	v_div_fmas_f32 v9, v9, v10, v12
	v_div_fixup_f32 v9, v9, v1, s2
	v_mul_f32_e32 v10, v9, v9
	v_mov_b32_e32 v11, 0x3a47c962
	v_mov_b32_e32 v12, 0x3a15c4d9
	v_fmac_f32_e32 v11, 0, v10
	v_fmac_f32_e32 v12, 0, v10
	v_fmaak_f32 v11, v10, v11, 0x3d95ca45
	v_fmaak_f32 v12, v10, v12, 0x3d8cfeeb
	;; [unrolled: 1-line block ×8, first 2 shown]
	v_mov_b32_e32 v13, 0x3d513fd3
	v_fmaak_f32 v11, v10, v11, 0x40a6dd51
	v_fmaak_f32 v12, v10, v12, 0x40a6b6ea
	v_fmac_f32_e32 v13, 0, v10
	v_fma_f32 v12, v10, v12, 1.0
	v_fmaak_f32 v13, v10, v13, 0x409f6dae
	v_fmac_f32_e32 v14, 0, v10
	v_fma_f32 v11, v10, v11, 1.0
	v_fmaak_f32 v13, v10, v13, 0x4297a5cd
	v_fmaak_f32 v14, v10, v14, 0x44840e5d
	v_div_scale_f32 v15, s[0:1], v12, v12, v11
	v_fmaak_f32 v13, v10, v13, 0x43b763ca
	v_fmaak_f32 v14, v10, v14, 0x459bd349
	v_rcp_f32_e32 v16, v15
	v_fmaak_f32 v13, v10, v13, 0x4431b6ce
	v_fmaak_f32 v14, v10, v14, 0x46156947
	;; [unrolled: 1-line block ×8, first 2 shown]
	v_fma_f32 v14, -v15, v16, 1.0
	v_fmac_f32_e32 v16, v14, v16
	v_div_scale_f32 v14, vcc, v11, v12, v11
	v_mul_f32_e32 v17, v14, v16
	v_fma_f32 v18, -v15, v17, v14
	v_fmac_f32_e32 v17, v18, v16
	v_fma_f32 v14, -v15, v17, v14
	v_div_fmas_f32 v14, v14, v16, v17
	v_div_fixup_f32 v11, v14, v12, v11
	v_mul_f32_e32 v12, v6, v6
	v_mov_b32_e32 v14, 0x3c0881c4
	v_fmamk_f32 v15, v12, 0xb94c1982, v14
	v_fmaak_f32 v15, v12, v15, 0xbe2aaa9d
	v_mul_f32_e32 v15, v12, v15
	v_fmac_f32_e32 v6, v6, v15
	v_mov_b32_e32 v15, 0xbab64f3b
	v_fmamk_f32 v17, v12, 0x37d75334, v15
	v_fmaak_f32 v17, v12, v17, 0x3d2aabf7
	v_fmaak_f32 v17, v12, v17, 0xbf000004
	v_fma_f32 v12, v12, v17, 1.0
	v_and_b32_e32 v17, 1, v5
	v_lshlrev_b32_e32 v5, 30, v5
	v_cmp_eq_u32_e32 vcc, 0, v17
	v_and_b32_e32 v5, 0x80000000, v5
	v_xor_b32_e32 v3, v3, v2
	v_cndmask_b32_e32 v6, v12, v6, vcc
	v_xor_b32_e32 v3, v3, v5
	v_div_scale_f32 v5, s[0:1], v10, v10, v13
	v_xor_b32_e32 v3, v3, v6
	v_rcp_f32_e32 v6, v5
	s_movk_i32 s3, 0x1f8
	v_mov_b32_e32 v12, 0x7fc00000
	v_cmp_class_f32_e64 s[0:1], v2, s3
	v_mov_b32_e32 v16, 0xbe2aaa9d
	v_mov_b32_e32 v18, 0x3d2aabf7
	v_cndmask_b32_e64 v2, v12, v3, s[0:1]
	v_fma_f32 v3, -v5, v6, 1.0
	v_fmac_f32_e32 v6, v3, v6
	v_div_scale_f32 v3, vcc, v13, v10, v13
	v_mul_f32_e32 v17, v3, v6
	v_fma_f32 v20, -v5, v17, v3
	v_fmac_f32_e32 v17, v20, v6
	v_fma_f32 v3, -v5, v17, v3
	v_mul_f32_e32 v5, v8, v8
	v_fmac_f32_e32 v14, 0xb94c1982, v5
	v_fmac_f32_e32 v16, v5, v14
	;; [unrolled: 1-line block ×3, first 2 shown]
	v_mov_b32_e32 v19, 0xbf000004
	v_div_fmas_f32 v3, v3, v6, v17
	v_mul_f32_e32 v6, v5, v16
	v_fmac_f32_e32 v18, v5, v15
	v_fmac_f32_e32 v8, v8, v6
	;; [unrolled: 1-line block ×3, first 2 shown]
	v_and_b32_e32 v6, 1, v7
	v_fma_f32 v5, v5, v19, 1.0
	v_cmp_eq_u32_e32 vcc, 0, v6
	s_brev_b32 s2, 1
	v_lshlrev_b32_e32 v6, 30, v7
	v_cndmask_b32_e64 v5, -v8, v5, vcc
	v_bitop3_b32 v5, v6, v5, s2 bitop3:0x6c
	v_cndmask_b32_e64 v5, v12, v5, s[0:1]
	s_mov_b32 s0, 0xf800000
	v_mul_f32_e32 v6, 0x4f800000, v1
	v_cmp_gt_f32_e32 vcc, s0, v1
	v_div_fixup_f32 v3, v3, v10, v13
	v_mul_f32_e32 v3, v9, v3
	v_cndmask_b32_e32 v1, v1, v6, vcc
	v_sqrt_f32_e32 v6, v1
	v_mul_f32_e32 v3, v3, v5
	v_fmac_f32_e32 v3, v11, v2
	v_mul_f32_e32 v2, 0x3f4c422a, v3
	v_add_u32_e32 v3, -1, v6
	v_fma_f32 v5, -v3, v6, v1
	v_cmp_ge_f32_e64 s[0:1], 0, v5
	v_add_u32_e32 v5, 1, v6
	s_nop 0
	v_cndmask_b32_e64 v3, v6, v3, s[0:1]
	v_fma_f32 v6, -v5, v6, v1
	v_cmp_lt_f32_e64 s[0:1], 0, v6
	s_nop 1
	v_cndmask_b32_e64 v3, v3, v5, s[0:1]
	v_mul_f32_e32 v5, 0x37800000, v3
	v_cndmask_b32_e32 v3, v3, v5, vcc
	v_mov_b32_e32 v5, 0x260
	v_cmp_class_f32_e32 vcc, v1, v5
	s_nop 1
	v_cndmask_b32_e32 v1, v3, v1, vcc
	v_div_scale_f32 v3, s[0:1], v1, v1, v2
	v_rcp_f32_e32 v5, v3
	s_nop 0
	v_fma_f32 v6, -v3, v5, 1.0
	v_fmac_f32_e32 v5, v6, v5
	v_div_scale_f32 v6, vcc, v2, v1, v2
	v_mul_f32_e32 v7, v6, v5
	v_fma_f32 v8, -v3, v7, v6
	v_fmac_f32_e32 v7, v8, v5
	v_fma_f32 v3, -v3, v7, v6
	v_div_fmas_f32 v3, v3, v5, v7
	v_div_fixup_f32 v2, v3, v1, v2
.LBB19_224:
	s_or_b64 exec, exec, s[6:7]
	v_add_u32_e32 v4, 0x80, v4
	global_store_dword v0, v2, s[16:17]
	s_or_b64 exec, exec, s[48:49]
	v_cmp_gt_i32_e32 vcc, s55, v4
	s_and_saveexec_b64 s[48:49], vcc
	s_cbranch_execz .LBB19_199
.LBB19_225:
	s_andn2_b64 vcc, exec, s[36:37]
	s_cbranch_vccnz .LBB19_231
; %bb.226:
	s_andn2_b64 vcc, exec, s[46:47]
	s_cbranch_vccnz .LBB19_232
; %bb.227:
	s_add_i32 s56, s56, 1
	s_cmp_eq_u32 s54, 2
	s_cbranch_scc1 .LBB19_233
; %bb.228:
	s_and_b32 s50, s56, 28
	s_mov_b32 s51, 0
	v_mov_b32_e32 v0, 0
	v_mov_b32_e32 v2, 0
	s_mov_b64 s[46:47], s[34:35]
	v_mov_b32_e32 v5, v4
.LBB19_229:                             ; =>This Inner Loop Header: Depth=1
	s_load_dwordx8 s[8:15], s[46:47], 0x4
	s_load_dwordx4 s[28:31], s[46:47], 0x24
	s_load_dwordx8 s[0:7], s[44:45], 0x0
	s_add_u32 s46, s46, 48
	s_addc_u32 s47, s47, 0
	s_waitcnt lgkmcnt(0)
	v_mul_hi_u32 v1, s9, v5
	v_add_u32_e32 v1, v5, v1
	v_lshrrev_b32_e32 v1, s10, v1
	v_mul_lo_u32 v3, v1, s8
	v_mul_hi_u32 v6, s12, v1
	v_sub_u32_e32 v3, v5, v3
	v_add_u32_e32 v5, v1, v6
	v_lshrrev_b32_e32 v5, s13, v5
	v_mul_lo_u32 v7, v5, s11
	v_mul_hi_u32 v8, s15, v5
	v_sub_u32_e32 v1, v1, v7
	v_add_u32_e32 v7, v5, v8
	v_mul_lo_u32 v6, v3, s1
	v_mul_lo_u32 v3, v3, s0
	;; [unrolled: 1-line block ×4, first 2 shown]
	v_lshrrev_b32_e32 v7, s28, v7
	v_add3_u32 v0, v3, v0, v1
	v_mul_hi_u32 v3, s30, v7
	v_add3_u32 v1, v6, v2, v8
	v_mul_lo_u32 v2, v7, s14
	v_add_u32_e32 v3, v7, v3
	v_sub_u32_e32 v2, v5, v2
	v_lshrrev_b32_e32 v5, s31, v3
	s_add_i32 s51, s51, 4
	v_mul_lo_u32 v3, v5, s29
	s_add_u32 s44, s44, 32
	v_sub_u32_e32 v3, v7, v3
	s_addc_u32 s45, s45, 0
	v_mul_lo_u32 v6, v2, s4
	v_mul_lo_u32 v2, v2, s5
	;; [unrolled: 1-line block ×4, first 2 shown]
	s_cmp_eq_u32 s50, s51
	v_add3_u32 v2, v2, v1, v3
	v_add3_u32 v0, v6, v0, v7
	s_cbranch_scc0 .LBB19_229
; %bb.230:
	v_mov_b32_e32 v1, v2
	s_branch .LBB19_234
.LBB19_231:
                                        ; implicit-def: $vgpr2
                                        ; implicit-def: $vgpr0
	s_branch .LBB19_238
.LBB19_232:
	v_mov_b32_e32 v2, 0
	v_mov_b32_e32 v0, 0
	s_branch .LBB19_237
.LBB19_233:
	v_mov_b32_e32 v0, 0
	s_mov_b32 s50, 0
	v_mov_b32_e32 v1, v0
                                        ; implicit-def: $vgpr2
	v_mov_b32_e32 v5, v4
.LBB19_234:
	s_and_b32 s4, s56, 3
	s_cmp_eq_u32 s4, 0
	s_cbranch_scc1 .LBB19_237
; %bb.235:
	s_lshl_b32 s0, s50, 3
	s_add_u32 s0, s34, s0
	s_addc_u32 s1, s35, 0
	s_add_u32 s0, s0, 0xc4
	s_addc_u32 s1, s1, 0
	s_mul_i32 s2, s50, 12
	s_add_u32 s2, s34, s2
	s_addc_u32 s3, s35, 0
.LBB19_236:                             ; =>This Inner Loop Header: Depth=1
	s_load_dwordx2 s[6:7], s[2:3], 0x4
	s_load_dword s5, s[2:3], 0xc
	s_load_dwordx2 s[8:9], s[0:1], 0x0
	v_mov_b32_e32 v2, v1
	s_add_u32 s2, s2, 12
	s_waitcnt lgkmcnt(0)
	v_mul_hi_u32 v1, s7, v5
	v_add_u32_e32 v1, v5, v1
	v_lshrrev_b32_e32 v1, s5, v1
	s_addc_u32 s3, s3, 0
	v_mul_lo_u32 v3, v1, s6
	s_add_u32 s0, s0, 8
	v_sub_u32_e32 v6, v5, v3
	s_addc_u32 s1, s1, 0
	s_add_i32 s4, s4, -1
	v_mov_b32_e32 v5, v1
	v_mad_u64_u32 v[2:3], s[6:7], v6, s9, v[2:3]
	v_mad_u64_u32 v[0:1], s[6:7], v6, s8, v[0:1]
	s_cmp_lg_u32 s4, 0
	v_mov_b32_e32 v1, v2
	s_cbranch_scc1 .LBB19_236
.LBB19_237:
	s_cbranch_execnz .LBB19_240
.LBB19_238:
	s_waitcnt lgkmcnt(0)
	v_mul_hi_u32 v0, s25, v4
	v_add_u32_e32 v0, v4, v0
	v_lshrrev_b32_e32 v1, s26, v0
	v_mul_lo_u32 v0, v1, s24
	v_sub_u32_e32 v0, v4, v0
	v_mul_lo_u32 v2, v0, s21
	s_andn2_b64 vcc, exec, s[42:43]
	v_mul_lo_u32 v0, v0, s20
	s_cbranch_vccnz .LBB19_240
; %bb.239:
	v_mul_hi_u32 v3, s40, v1
	v_add_u32_e32 v3, v1, v3
	v_lshrrev_b32_e32 v3, s41, v3
	v_mul_lo_u32 v3, v3, s27
	v_sub_u32_e32 v3, v1, v3
	v_mad_u64_u32 v[0:1], s[0:1], v3, s22, v[0:1]
	v_mad_u64_u32 v[2:3], s[0:1], v3, s23, v[2:3]
.LBB19_240:
	s_waitcnt lgkmcnt(0)
	global_load_dword v1, v2, s[18:19]
	s_mov_b32 s0, 0x40a00000
                                        ; implicit-def: $vgpr2
	s_waitcnt vmcnt(0)
	v_cmp_ge_f32_e32 vcc, s0, v1
	s_and_saveexec_b64 s[0:1], vcc
	s_xor_b64 s[2:3], exec, s[0:1]
	s_cbranch_execz .LBB19_246
; %bb.241:
	v_cmp_neq_f32_e32 vcc, 0, v1
	v_mov_b32_e32 v2, 0xff800000
	s_and_saveexec_b64 s[4:5], vcc
	s_cbranch_execz .LBB19_245
; %bb.242:
	v_cmp_nge_f32_e32 vcc, 0, v1
	v_mov_b32_e32 v2, 0x7fc00000
	s_and_saveexec_b64 s[6:7], vcc
	s_cbranch_execz .LBB19_244
; %bb.243:
	v_mul_f32_e32 v2, v1, v1
	v_mov_b32_e32 v3, 0x4414934d
	v_fmac_f32_e32 v3, 0, v2
	v_fmaak_f32 v3, v2, v3, 0x48660b06
	s_mov_b32 s0, 0x4e9695f3
	v_mul_f32_e32 v4, 0, v2
	v_mul_f32_e32 v5, v2, v3
	s_mov_b32 s1, 0x4c8c277d
	v_pk_add_f32 v[6:7], v[4:5], s[0:1]
	s_mov_b32 s0, 0xd316b96b
	s_mov_b32 s1, 0x508bc61d
	v_pk_fma_f32 v[6:7], v[2:3], v[6:7], s[0:1] op_sel_hi:[0,1,1]
	s_mov_b32 s0, 0x56d04aa6
	s_mov_b32 s1, 0x5461faf8
	v_pk_fma_f32 v[6:7], v[2:3], v[6:7], s[0:1] op_sel_hi:[0,1,1]
	s_mov_b32 s0, 0xd9e700d2
	s_mov_b32 s1, 0x580d1937
	v_pk_fma_f32 v[6:7], v[2:3], v[6:7], s[0:1] op_sel_hi:[0,1,1]
	s_mov_b32 s0, 0x5c33cd68
	s_mov_b32 s1, 0x5b741f1e
	v_pk_fma_f32 v[6:7], v[2:3], v[6:7], s[0:1] op_sel_hi:[0,1,1]
	s_mov_b32 s0, 0xdd2cf20b
	s_mov_b32 s1, 0x5e5c878d
	v_pk_fma_f32 v[6:7], v[2:3], v[6:7], s[0:1] op_sel_hi:[0,1,1]
	v_div_scale_f32 v3, s[0:1], v7, v7, v6
	v_rcp_f32_e32 v8, v3
	s_mov_b32 s0, 0xce5691e2
	s_mov_b32 s1, 0x548a37dc
	v_fma_f32 v5, -v3, v8, 1.0
	v_fmac_f32_e32 v8, v5, v8
	v_div_scale_f32 v5, vcc, v6, v7, v6
	v_mul_f32_e32 v9, v5, v8
	v_fma_f32 v10, -v3, v9, v5
	v_fmac_f32_e32 v9, v10, v8
	v_fma_f32 v3, -v3, v9, v5
	v_mov_b32_e32 v5, 0x441b3589
	v_fmac_f32_e32 v5, 0, v2
	v_fmaak_f32 v5, v2, v5, 0x487af6d0
	v_fmaak_f32 v5, v2, v5, 0x4c9f4aa7
	;; [unrolled: 1-line block ×3, first 2 shown]
	v_mul_f32_e32 v5, v2, v5
	v_pk_add_f32 v[4:5], v[4:5], s[0:1]
	s_mov_b32 s0, 0x52d295d0
	s_mov_b32 s1, 0x58325852
	v_pk_fma_f32 v[4:5], v[2:3], v[4:5], s[0:1] op_sel_hi:[0,1,1]
	s_mov_b32 s0, 0xd6845497
	s_mov_b32 s1, 0x5b9f0600
	v_pk_fma_f32 v[4:5], v[2:3], v[4:5], s[0:1] op_sel_hi:[0,1,1]
	;; [unrolled: 3-line block ×3, first 2 shown]
	v_div_scale_f32 v10, s[0:1], v5, v5, v4
	v_rcp_f32_e32 v11, v10
	v_div_fmas_f32 v3, v3, v8, v9
	v_div_fixup_f32 v6, v3, v7, v6
	s_mov_b32 s0, 0xc244dfb3
	v_fma_f32 v3, -v10, v11, 1.0
	v_fmac_f32_e32 v11, v3, v11
	v_div_scale_f32 v3, vcc, v4, v5, v4
	v_mul_f32_e32 v7, v3, v11
	v_fma_f32 v8, -v10, v7, v3
	v_fmac_f32_e32 v7, v8, v11
	v_fma_f32 v3, -v10, v7, v3
	v_div_fmas_f32 v3, v3, v11, v7
	v_div_fixup_f32 v3, v3, v5, v4
	s_mov_b32 s1, 0xc16ae95a
	v_mul_f32_e32 v4, v1, v3
	v_pk_add_f32 v[2:3], v[2:3], s[0:1] op_sel_hi:[0,1]
	s_mov_b32 s0, 0x800000
	v_cmp_gt_f32_e32 vcc, s0, v1
	v_mul_f32_e32 v3, v3, v4
	v_mul_f32_e32 v2, v2, v3
	v_cndmask_b32_e64 v5, 0, 32, vcc
	v_ldexp_f32 v5, v1, v5
	v_log_f32_e32 v5, v5
	s_mov_b32 s0, 0x3f317217
	v_mov_b32_e32 v7, 0x41b17218
	v_cndmask_b32_e32 v7, 0, v7, vcc
	v_mul_f32_e32 v3, 0x3f317217, v5
	v_fma_f32 v3, v5, s0, -v3
	v_fmamk_f32 v3, v5, 0x3377d1cf, v3
	s_mov_b32 s0, 0x7f800000
	v_fmac_f32_e32 v3, 0x3f317217, v5
	v_cmp_lt_f32_e64 s[0:1], |v5|, s0
	s_nop 1
	v_cndmask_b32_e64 v3, v5, v3, s[0:1]
	v_div_scale_f32 v4, s[0:1], v1, v1, -1.0
	v_rcp_f32_e32 v5, v4
	v_sub_f32_e32 v3, v3, v7
	v_fma_f32 v7, -v4, v5, 1.0
	v_fmac_f32_e32 v5, v7, v5
	v_div_scale_f32 v7, vcc, -1.0, v1, -1.0
	v_mul_f32_e32 v8, v7, v5
	v_fma_f32 v9, -v4, v8, v7
	v_fmac_f32_e32 v8, v9, v5
	v_fma_f32 v4, -v4, v8, v7
	v_div_fmas_f32 v4, v4, v5, v8
	v_div_fixup_f32 v4, v4, v1, -1.0
	v_fmac_f32_e32 v4, v3, v2
	v_mul_f32_e32 v2, 0x3f22f983, v4
	v_fmac_f32_e32 v2, v1, v6
.LBB19_244:
	s_or_b64 exec, exec, s[6:7]
.LBB19_245:
	s_or_b64 exec, exec, s[4:5]
                                        ; implicit-def: $vgpr1
.LBB19_246:
	s_andn2_saveexec_b64 s[6:7], s[2:3]
	s_cbranch_execz .LBB19_256
; %bb.247:
	v_add_f32_e32 v2, 0xc016cbe4, v1
	s_brev_b32 s0, 18
	v_and_b32_e32 v3, 0x7fffffff, v2
	v_cmp_nlt_f32_e64 s[8:9], |v2|, s0
                                        ; implicit-def: $vgpr4
                                        ; implicit-def: $vgpr5
	s_and_saveexec_b64 s[0:1], s[8:9]
	s_xor_b64 s[10:11], exec, s[0:1]
	s_cbranch_execz .LBB19_249
; %bb.248:
	v_lshrrev_b32_e32 v4, 23, v3
	v_add_u32_e32 v4, 0xffffff88, v4
	v_not_b32_e32 v5, 63
	v_cmp_lt_u32_e32 vcc, 63, v4
	s_mov_b32 s4, 0xfe5163ab
	v_mov_b32_e32 v7, 0
	v_cndmask_b32_e32 v5, 0, v5, vcc
	v_add_u32_e32 v4, v5, v4
	v_not_b32_e32 v5, 31
	v_cmp_lt_u32_e64 s[0:1], 31, v4
	s_nop 1
	v_cndmask_b32_e64 v6, 0, v5, s[0:1]
	v_add_u32_e32 v4, v6, v4
	v_cmp_lt_u32_e64 s[2:3], 31, v4
	s_nop 1
	v_cndmask_b32_e64 v5, 0, v5, s[2:3]
	v_add_u32_e32 v18, v5, v4
	v_and_b32_e32 v4, 0x7fffff, v3
	v_or_b32_e32 v19, 0x800000, v4
	v_mad_u64_u32 v[4:5], s[4:5], v19, s4, 0
	v_mov_b32_e32 v6, v5
	s_mov_b32 s4, 0x3c439041
	v_mad_u64_u32 v[8:9], s[4:5], v19, s4, v[6:7]
	v_mov_b32_e32 v6, v9
	s_mov_b32 s4, 0xdb629599
	;; [unrolled: 3-line block ×6, first 2 shown]
	v_mad_u64_u32 v[6:7], s[4:5], v19, s4, v[6:7]
	v_cndmask_b32_e32 v5, v16, v12, vcc
	v_cndmask_b32_e32 v6, v6, v14, vcc
	;; [unrolled: 1-line block ×3, first 2 shown]
	v_cndmask_b32_e64 v9, v6, v5, s[0:1]
	v_cndmask_b32_e64 v6, v7, v6, s[0:1]
	v_cndmask_b32_e32 v7, v14, v10, vcc
	v_cndmask_b32_e64 v5, v5, v7, s[0:1]
	v_cndmask_b32_e32 v8, v12, v8, vcc
	v_cndmask_b32_e64 v6, v6, v9, s[2:3]
	v_cndmask_b32_e64 v9, v9, v5, s[2:3]
	v_sub_u32_e32 v11, 32, v18
	v_cndmask_b32_e64 v7, v7, v8, s[0:1]
	v_alignbit_b32 v13, v6, v9, v11
	v_cmp_eq_u32_e64 s[4:5], 0, v18
	v_cndmask_b32_e64 v5, v5, v7, s[2:3]
	v_alignbit_b32 v12, v9, v5, v11
	v_cndmask_b32_e64 v6, v13, v6, s[4:5]
	v_cndmask_b32_e32 v4, v10, v4, vcc
	v_cndmask_b32_e64 v9, v12, v9, s[4:5]
	v_bfe_u32 v14, v6, 29, 1
	v_cndmask_b32_e64 v4, v8, v4, s[0:1]
	v_alignbit_b32 v12, v6, v9, 30
	v_sub_u32_e32 v15, 0, v14
	v_cndmask_b32_e64 v4, v7, v4, s[2:3]
	v_xor_b32_e32 v12, v12, v15
	v_alignbit_b32 v7, v5, v4, v11
	v_cndmask_b32_e64 v5, v7, v5, s[4:5]
	v_ffbh_u32_e32 v8, v12
	v_alignbit_b32 v7, v9, v5, 30
	v_min_u32_e32 v8, 32, v8
	v_alignbit_b32 v4, v5, v4, 30
	v_xor_b32_e32 v7, v7, v15
	v_sub_u32_e32 v9, 31, v8
	v_xor_b32_e32 v4, v4, v15
	v_alignbit_b32 v10, v12, v7, v9
	v_alignbit_b32 v4, v7, v4, v9
	;; [unrolled: 1-line block ×3, first 2 shown]
	v_ffbh_u32_e32 v7, v5
	v_min_u32_e32 v7, 32, v7
	v_lshrrev_b32_e32 v13, 29, v6
	v_not_b32_e32 v9, v7
	v_alignbit_b32 v4, v5, v4, v9
	v_lshlrev_b32_e32 v5, 31, v13
	v_or_b32_e32 v9, 0x33000000, v5
	v_add_lshl_u32 v7, v7, v8, 23
	v_lshrrev_b32_e32 v4, 9, v4
	v_sub_u32_e32 v7, v9, v7
	v_or_b32_e32 v5, 0.5, v5
	v_lshlrev_b32_e32 v8, 23, v8
	v_or_b32_e32 v4, v7, v4
	v_lshrrev_b32_e32 v7, 9, v10
	v_sub_u32_e32 v5, v5, v8
	v_or_b32_e32 v5, v7, v5
	s_mov_b32 s0, 0x3fc90fda
	v_mul_f32_e32 v7, 0x3fc90fda, v5
	v_fma_f32 v8, v5, s0, -v7
	v_fmamk_f32 v5, v5, 0x33a22168, v8
	v_fmac_f32_e32 v5, 0x3fc90fda, v4
	v_lshrrev_b32_e32 v4, 30, v6
	v_add_f32_e32 v5, v7, v5
	v_add_u32_e32 v4, v14, v4
	s_andn2_saveexec_b64 s[0:1], s[10:11]
	s_cbranch_execz .LBB19_251
	s_branch .LBB19_250
.LBB19_249:
	s_andn2_saveexec_b64 s[0:1], s[10:11]
	s_cbranch_execz .LBB19_251
.LBB19_250:
	s_mov_b32 s2, 0x3f22f983
	v_mul_f32_e64 v4, |v2|, s2
	v_rndne_f32_e32 v5, v4
	s_mov_b32 s2, 0xbfc90fda
	v_cvt_i32_f32_e32 v4, v5
	v_fma_f32 v6, v5, s2, |v2|
	v_fmamk_f32 v6, v5, 0xb3a22168, v6
	v_fmamk_f32 v5, v5, 0xa7c234c4, v6
.LBB19_251:
	s_or_b64 exec, exec, s[0:1]
                                        ; implicit-def: $vgpr6
                                        ; implicit-def: $vgpr7
	s_and_saveexec_b64 s[0:1], s[8:9]
	s_xor_b64 s[8:9], exec, s[0:1]
	s_cbranch_execz .LBB19_253
; %bb.252:
	v_lshrrev_b32_e32 v6, 23, v3
	v_add_u32_e32 v6, 0xffffff88, v6
	v_not_b32_e32 v7, 63
	v_cmp_lt_u32_e32 vcc, 63, v6
	s_mov_b32 s4, 0xfe5163ab
	v_mov_b32_e32 v9, 0
	v_cndmask_b32_e32 v7, 0, v7, vcc
	v_add_u32_e32 v6, v7, v6
	v_not_b32_e32 v7, 31
	v_cmp_lt_u32_e64 s[0:1], 31, v6
	s_nop 1
	v_cndmask_b32_e64 v8, 0, v7, s[0:1]
	v_add_u32_e32 v6, v8, v6
	v_cmp_lt_u32_e64 s[2:3], 31, v6
	s_nop 1
	v_cndmask_b32_e64 v7, 0, v7, s[2:3]
	v_add_u32_e32 v20, v7, v6
	v_and_b32_e32 v6, 0x7fffff, v3
	v_or_b32_e32 v21, 0x800000, v6
	v_mad_u64_u32 v[6:7], s[4:5], v21, s4, 0
	v_mov_b32_e32 v8, v7
	s_mov_b32 s4, 0x3c439041
	v_mad_u64_u32 v[10:11], s[4:5], v21, s4, v[8:9]
	v_mov_b32_e32 v8, v11
	s_mov_b32 s4, 0xdb629599
	;; [unrolled: 3-line block ×6, first 2 shown]
	v_mad_u64_u32 v[8:9], s[4:5], v21, s4, v[8:9]
	v_cndmask_b32_e32 v7, v18, v14, vcc
	v_cndmask_b32_e32 v8, v8, v16, vcc
	;; [unrolled: 1-line block ×3, first 2 shown]
	v_cndmask_b32_e64 v11, v8, v7, s[0:1]
	v_cndmask_b32_e64 v8, v9, v8, s[0:1]
	v_cndmask_b32_e32 v9, v16, v12, vcc
	v_cndmask_b32_e64 v7, v7, v9, s[0:1]
	v_cndmask_b32_e32 v10, v14, v10, vcc
	v_cndmask_b32_e64 v8, v8, v11, s[2:3]
	v_cndmask_b32_e64 v11, v11, v7, s[2:3]
	v_sub_u32_e32 v13, 32, v20
	v_cndmask_b32_e64 v9, v9, v10, s[0:1]
	v_alignbit_b32 v15, v8, v11, v13
	v_cmp_eq_u32_e64 s[4:5], 0, v20
	v_cndmask_b32_e64 v7, v7, v9, s[2:3]
	v_alignbit_b32 v14, v11, v7, v13
	v_cndmask_b32_e64 v8, v15, v8, s[4:5]
	v_cndmask_b32_e32 v6, v12, v6, vcc
	v_cndmask_b32_e64 v11, v14, v11, s[4:5]
	v_bfe_u32 v16, v8, 29, 1
	v_cndmask_b32_e64 v6, v10, v6, s[0:1]
	v_alignbit_b32 v14, v8, v11, 30
	v_sub_u32_e32 v17, 0, v16
	v_cndmask_b32_e64 v6, v9, v6, s[2:3]
	v_xor_b32_e32 v14, v14, v17
	v_alignbit_b32 v9, v7, v6, v13
	v_cndmask_b32_e64 v7, v9, v7, s[4:5]
	v_ffbh_u32_e32 v10, v14
	v_alignbit_b32 v9, v11, v7, 30
	v_min_u32_e32 v10, 32, v10
	v_alignbit_b32 v6, v7, v6, 30
	v_xor_b32_e32 v9, v9, v17
	v_sub_u32_e32 v11, 31, v10
	v_xor_b32_e32 v6, v6, v17
	v_alignbit_b32 v12, v14, v9, v11
	v_alignbit_b32 v6, v9, v6, v11
	;; [unrolled: 1-line block ×3, first 2 shown]
	v_ffbh_u32_e32 v9, v7
	v_min_u32_e32 v9, 32, v9
	v_lshrrev_b32_e32 v15, 29, v8
	v_not_b32_e32 v11, v9
	v_alignbit_b32 v6, v7, v6, v11
	v_lshlrev_b32_e32 v7, 31, v15
	v_or_b32_e32 v11, 0x33000000, v7
	v_add_lshl_u32 v9, v9, v10, 23
	v_lshrrev_b32_e32 v6, 9, v6
	v_sub_u32_e32 v9, v11, v9
	v_or_b32_e32 v7, 0.5, v7
	v_lshlrev_b32_e32 v10, 23, v10
	v_or_b32_e32 v6, v9, v6
	v_lshrrev_b32_e32 v9, 9, v12
	v_sub_u32_e32 v7, v7, v10
	v_or_b32_e32 v7, v9, v7
	s_mov_b32 s0, 0x3fc90fda
	v_mul_f32_e32 v9, 0x3fc90fda, v7
	v_fma_f32 v10, v7, s0, -v9
	v_fmamk_f32 v7, v7, 0x33a22168, v10
	v_fmac_f32_e32 v7, 0x3fc90fda, v6
	v_lshrrev_b32_e32 v6, 30, v8
	v_add_f32_e32 v7, v9, v7
	v_add_u32_e32 v6, v16, v6
	s_andn2_saveexec_b64 s[0:1], s[8:9]
	s_cbranch_execnz .LBB19_254
	s_branch .LBB19_255
.LBB19_253:
	s_andn2_saveexec_b64 s[0:1], s[8:9]
	s_cbranch_execz .LBB19_255
.LBB19_254:
	s_mov_b32 s2, 0x3f22f983
	v_mul_f32_e64 v6, |v2|, s2
	v_rndne_f32_e32 v7, v6
	s_mov_b32 s2, 0xbfc90fda
	v_cvt_i32_f32_e32 v6, v7
	v_fma_f32 v8, v7, s2, |v2|
	v_fmamk_f32 v8, v7, 0xb3a22168, v8
	v_fmamk_f32 v7, v7, 0xa7c234c4, v8
.LBB19_255:
	s_or_b64 exec, exec, s[0:1]
	s_mov_b32 s2, 0x40a00000
	v_div_scale_f32 v8, s[0:1], v1, v1, s2
	v_rcp_f32_e32 v9, v8
	v_div_scale_f32 v10, vcc, s2, v1, s2
	v_mov_b32_e32 v13, 0x42947983
	v_fma_f32 v11, -v8, v9, 1.0
	v_fmac_f32_e32 v9, v11, v9
	v_mul_f32_e32 v11, v10, v9
	v_fma_f32 v12, -v8, v11, v10
	v_fmac_f32_e32 v11, v12, v9
	v_fma_f32 v8, -v8, v11, v10
	v_div_fmas_f32 v8, v8, v9, v11
	v_div_fixup_f32 v8, v8, v1, s2
	v_mul_f32_e32 v9, v8, v8
	v_mov_b32_e32 v10, 0x3a47c962
	v_mov_b32_e32 v11, 0x3a15c4d9
	v_fmac_f32_e32 v10, 0, v9
	v_fmac_f32_e32 v11, 0, v9
	v_fmaak_f32 v10, v9, v10, 0x3d95ca45
	v_fmaak_f32 v11, v9, v11, 0x3d8cfeeb
	;; [unrolled: 1-line block ×8, first 2 shown]
	v_mov_b32_e32 v12, 0x3d513fd3
	v_fmaak_f32 v10, v9, v10, 0x40a6dd51
	v_fmaak_f32 v11, v9, v11, 0x40a6b6ea
	v_fmac_f32_e32 v12, 0, v9
	v_fma_f32 v11, v9, v11, 1.0
	v_fmaak_f32 v12, v9, v12, 0x409f6dae
	v_fmac_f32_e32 v13, 0, v9
	v_fma_f32 v10, v9, v10, 1.0
	v_fmaak_f32 v12, v9, v12, 0x4297a5cd
	v_fmaak_f32 v13, v9, v13, 0x44840e5d
	v_div_scale_f32 v14, s[0:1], v11, v11, v10
	v_fmaak_f32 v12, v9, v12, 0x43b763ca
	v_fmaak_f32 v13, v9, v13, 0x459bd349
	v_rcp_f32_e32 v15, v14
	v_fmaak_f32 v12, v9, v12, 0x4431b6ce
	v_fmaak_f32 v13, v9, v13, 0x46156947
	;; [unrolled: 1-line block ×8, first 2 shown]
	v_fma_f32 v13, -v14, v15, 1.0
	v_fmac_f32_e32 v15, v13, v15
	v_div_scale_f32 v13, vcc, v10, v11, v10
	v_mul_f32_e32 v16, v13, v15
	v_fma_f32 v17, -v14, v16, v13
	v_fmac_f32_e32 v16, v17, v15
	v_fma_f32 v13, -v14, v16, v13
	v_div_fmas_f32 v13, v13, v15, v16
	v_div_fixup_f32 v10, v13, v11, v10
	v_mul_f32_e32 v11, v5, v5
	v_mov_b32_e32 v13, 0x3c0881c4
	v_fmamk_f32 v14, v11, 0xb94c1982, v13
	v_fmaak_f32 v14, v11, v14, 0xbe2aaa9d
	v_mul_f32_e32 v14, v11, v14
	v_fmac_f32_e32 v5, v5, v14
	v_mov_b32_e32 v14, 0xbab64f3b
	v_fmamk_f32 v16, v11, 0x37d75334, v14
	v_fmaak_f32 v16, v11, v16, 0x3d2aabf7
	v_fmaak_f32 v16, v11, v16, 0xbf000004
	v_fma_f32 v11, v11, v16, 1.0
	v_and_b32_e32 v16, 1, v4
	v_lshlrev_b32_e32 v4, 30, v4
	v_cmp_eq_u32_e32 vcc, 0, v16
	v_and_b32_e32 v4, 0x80000000, v4
	v_xor_b32_e32 v3, v3, v2
	v_cndmask_b32_e32 v5, v11, v5, vcc
	v_xor_b32_e32 v3, v3, v4
	v_div_scale_f32 v4, s[0:1], v9, v9, v12
	v_xor_b32_e32 v3, v3, v5
	v_rcp_f32_e32 v5, v4
	s_movk_i32 s3, 0x1f8
	v_mov_b32_e32 v11, 0x7fc00000
	v_cmp_class_f32_e64 s[0:1], v2, s3
	v_mov_b32_e32 v15, 0xbe2aaa9d
	v_mov_b32_e32 v17, 0x3d2aabf7
	v_cndmask_b32_e64 v2, v11, v3, s[0:1]
	v_fma_f32 v3, -v4, v5, 1.0
	v_fmac_f32_e32 v5, v3, v5
	v_div_scale_f32 v3, vcc, v12, v9, v12
	v_mul_f32_e32 v16, v3, v5
	v_fma_f32 v19, -v4, v16, v3
	v_fmac_f32_e32 v16, v19, v5
	v_fma_f32 v3, -v4, v16, v3
	v_mul_f32_e32 v4, v7, v7
	v_fmac_f32_e32 v13, 0xb94c1982, v4
	v_fmac_f32_e32 v15, v4, v13
	;; [unrolled: 1-line block ×3, first 2 shown]
	v_mov_b32_e32 v18, 0xbf000004
	v_div_fmas_f32 v3, v3, v5, v16
	v_mul_f32_e32 v5, v4, v15
	v_fmac_f32_e32 v17, v4, v14
	v_fmac_f32_e32 v7, v7, v5
	;; [unrolled: 1-line block ×3, first 2 shown]
	v_and_b32_e32 v5, 1, v6
	v_fma_f32 v4, v4, v18, 1.0
	v_cmp_eq_u32_e32 vcc, 0, v5
	s_brev_b32 s2, 1
	v_lshlrev_b32_e32 v5, 30, v6
	v_cndmask_b32_e64 v4, -v7, v4, vcc
	v_bitop3_b32 v4, v5, v4, s2 bitop3:0x6c
	v_cndmask_b32_e64 v4, v11, v4, s[0:1]
	s_mov_b32 s0, 0xf800000
	v_mul_f32_e32 v5, 0x4f800000, v1
	v_cmp_gt_f32_e32 vcc, s0, v1
	v_div_fixup_f32 v3, v3, v9, v12
	v_mul_f32_e32 v3, v8, v3
	v_cndmask_b32_e32 v1, v1, v5, vcc
	v_sqrt_f32_e32 v5, v1
	v_mul_f32_e32 v3, v3, v4
	v_fmac_f32_e32 v3, v10, v2
	v_mul_f32_e32 v2, 0x3f4c422a, v3
	v_add_u32_e32 v3, -1, v5
	v_fma_f32 v4, -v3, v5, v1
	v_cmp_ge_f32_e64 s[0:1], 0, v4
	v_add_u32_e32 v4, 1, v5
	s_nop 0
	v_cndmask_b32_e64 v3, v5, v3, s[0:1]
	v_fma_f32 v5, -v4, v5, v1
	v_cmp_lt_f32_e64 s[0:1], 0, v5
	s_nop 1
	v_cndmask_b32_e64 v3, v3, v4, s[0:1]
	v_mul_f32_e32 v4, 0x37800000, v3
	v_cndmask_b32_e32 v3, v3, v4, vcc
	v_mov_b32_e32 v4, 0x260
	v_cmp_class_f32_e32 vcc, v1, v4
	s_nop 1
	v_cndmask_b32_e32 v1, v3, v1, vcc
	v_div_scale_f32 v3, s[0:1], v1, v1, v2
	v_rcp_f32_e32 v4, v3
	s_nop 0
	v_fma_f32 v5, -v3, v4, 1.0
	v_fmac_f32_e32 v4, v5, v4
	v_div_scale_f32 v5, vcc, v2, v1, v2
	v_mul_f32_e32 v6, v5, v4
	v_fma_f32 v7, -v3, v6, v5
	v_fmac_f32_e32 v6, v7, v4
	v_fma_f32 v3, -v3, v6, v5
	v_div_fmas_f32 v3, v3, v4, v6
	v_div_fixup_f32 v2, v3, v1, v2
.LBB19_256:
	s_or_b64 exec, exec, s[6:7]
	global_store_dword v0, v2, s[16:17]
	s_or_b64 exec, exec, s[48:49]
                                        ; implicit-def: $vgpr16
                                        ; implicit-def: $vgpr4
	s_andn2_saveexec_b64 s[0:1], s[38:39]
	s_cbranch_execz .LBB19_200
	s_branch .LBB19_9
	.section	.rodata,"a",@progbits
	.p2align	6, 0x0
	.amdhsa_kernel _ZN2at6native32elementwise_kernel_manual_unrollILi128ELi4EZNS0_22gpu_kernel_impl_nocastIZZZNS0_12_GLOBAL__N_121bessel_y1_kernel_cudaERNS_18TensorIteratorBaseEENKUlvE_clEvENKUlvE0_clEvEUlfE_EEvS5_RKT_EUlibE_EEviT1_
		.amdhsa_group_segment_fixed_size 0
		.amdhsa_private_segment_fixed_size 0
		.amdhsa_kernarg_size 360
		.amdhsa_user_sgpr_count 2
		.amdhsa_user_sgpr_dispatch_ptr 0
		.amdhsa_user_sgpr_queue_ptr 0
		.amdhsa_user_sgpr_kernarg_segment_ptr 1
		.amdhsa_user_sgpr_dispatch_id 0
		.amdhsa_user_sgpr_kernarg_preload_length 0
		.amdhsa_user_sgpr_kernarg_preload_offset 0
		.amdhsa_user_sgpr_private_segment_size 0
		.amdhsa_uses_dynamic_stack 0
		.amdhsa_enable_private_segment 0
		.amdhsa_system_sgpr_workgroup_id_x 1
		.amdhsa_system_sgpr_workgroup_id_y 0
		.amdhsa_system_sgpr_workgroup_id_z 0
		.amdhsa_system_sgpr_workgroup_info 0
		.amdhsa_system_vgpr_workitem_id 0
		.amdhsa_next_free_vgpr 28
		.amdhsa_next_free_sgpr 60
		.amdhsa_accum_offset 28
		.amdhsa_reserve_vcc 1
		.amdhsa_float_round_mode_32 0
		.amdhsa_float_round_mode_16_64 0
		.amdhsa_float_denorm_mode_32 3
		.amdhsa_float_denorm_mode_16_64 3
		.amdhsa_dx10_clamp 1
		.amdhsa_ieee_mode 1
		.amdhsa_fp16_overflow 0
		.amdhsa_tg_split 0
		.amdhsa_exception_fp_ieee_invalid_op 0
		.amdhsa_exception_fp_denorm_src 0
		.amdhsa_exception_fp_ieee_div_zero 0
		.amdhsa_exception_fp_ieee_overflow 0
		.amdhsa_exception_fp_ieee_underflow 0
		.amdhsa_exception_fp_ieee_inexact 0
		.amdhsa_exception_int_div_zero 0
	.end_amdhsa_kernel
	.section	.text._ZN2at6native32elementwise_kernel_manual_unrollILi128ELi4EZNS0_22gpu_kernel_impl_nocastIZZZNS0_12_GLOBAL__N_121bessel_y1_kernel_cudaERNS_18TensorIteratorBaseEENKUlvE_clEvENKUlvE0_clEvEUlfE_EEvS5_RKT_EUlibE_EEviT1_,"axG",@progbits,_ZN2at6native32elementwise_kernel_manual_unrollILi128ELi4EZNS0_22gpu_kernel_impl_nocastIZZZNS0_12_GLOBAL__N_121bessel_y1_kernel_cudaERNS_18TensorIteratorBaseEENKUlvE_clEvENKUlvE0_clEvEUlfE_EEvS5_RKT_EUlibE_EEviT1_,comdat
.Lfunc_end19:
	.size	_ZN2at6native32elementwise_kernel_manual_unrollILi128ELi4EZNS0_22gpu_kernel_impl_nocastIZZZNS0_12_GLOBAL__N_121bessel_y1_kernel_cudaERNS_18TensorIteratorBaseEENKUlvE_clEvENKUlvE0_clEvEUlfE_EEvS5_RKT_EUlibE_EEviT1_, .Lfunc_end19-_ZN2at6native32elementwise_kernel_manual_unrollILi128ELi4EZNS0_22gpu_kernel_impl_nocastIZZZNS0_12_GLOBAL__N_121bessel_y1_kernel_cudaERNS_18TensorIteratorBaseEENKUlvE_clEvENKUlvE0_clEvEUlfE_EEvS5_RKT_EUlibE_EEviT1_
                                        ; -- End function
	.set _ZN2at6native32elementwise_kernel_manual_unrollILi128ELi4EZNS0_22gpu_kernel_impl_nocastIZZZNS0_12_GLOBAL__N_121bessel_y1_kernel_cudaERNS_18TensorIteratorBaseEENKUlvE_clEvENKUlvE0_clEvEUlfE_EEvS5_RKT_EUlibE_EEviT1_.num_vgpr, 28
	.set _ZN2at6native32elementwise_kernel_manual_unrollILi128ELi4EZNS0_22gpu_kernel_impl_nocastIZZZNS0_12_GLOBAL__N_121bessel_y1_kernel_cudaERNS_18TensorIteratorBaseEENKUlvE_clEvENKUlvE0_clEvEUlfE_EEvS5_RKT_EUlibE_EEviT1_.num_agpr, 0
	.set _ZN2at6native32elementwise_kernel_manual_unrollILi128ELi4EZNS0_22gpu_kernel_impl_nocastIZZZNS0_12_GLOBAL__N_121bessel_y1_kernel_cudaERNS_18TensorIteratorBaseEENKUlvE_clEvENKUlvE0_clEvEUlfE_EEvS5_RKT_EUlibE_EEviT1_.numbered_sgpr, 60
	.set _ZN2at6native32elementwise_kernel_manual_unrollILi128ELi4EZNS0_22gpu_kernel_impl_nocastIZZZNS0_12_GLOBAL__N_121bessel_y1_kernel_cudaERNS_18TensorIteratorBaseEENKUlvE_clEvENKUlvE0_clEvEUlfE_EEvS5_RKT_EUlibE_EEviT1_.num_named_barrier, 0
	.set _ZN2at6native32elementwise_kernel_manual_unrollILi128ELi4EZNS0_22gpu_kernel_impl_nocastIZZZNS0_12_GLOBAL__N_121bessel_y1_kernel_cudaERNS_18TensorIteratorBaseEENKUlvE_clEvENKUlvE0_clEvEUlfE_EEvS5_RKT_EUlibE_EEviT1_.private_seg_size, 0
	.set _ZN2at6native32elementwise_kernel_manual_unrollILi128ELi4EZNS0_22gpu_kernel_impl_nocastIZZZNS0_12_GLOBAL__N_121bessel_y1_kernel_cudaERNS_18TensorIteratorBaseEENKUlvE_clEvENKUlvE0_clEvEUlfE_EEvS5_RKT_EUlibE_EEviT1_.uses_vcc, 1
	.set _ZN2at6native32elementwise_kernel_manual_unrollILi128ELi4EZNS0_22gpu_kernel_impl_nocastIZZZNS0_12_GLOBAL__N_121bessel_y1_kernel_cudaERNS_18TensorIteratorBaseEENKUlvE_clEvENKUlvE0_clEvEUlfE_EEvS5_RKT_EUlibE_EEviT1_.uses_flat_scratch, 0
	.set _ZN2at6native32elementwise_kernel_manual_unrollILi128ELi4EZNS0_22gpu_kernel_impl_nocastIZZZNS0_12_GLOBAL__N_121bessel_y1_kernel_cudaERNS_18TensorIteratorBaseEENKUlvE_clEvENKUlvE0_clEvEUlfE_EEvS5_RKT_EUlibE_EEviT1_.has_dyn_sized_stack, 0
	.set _ZN2at6native32elementwise_kernel_manual_unrollILi128ELi4EZNS0_22gpu_kernel_impl_nocastIZZZNS0_12_GLOBAL__N_121bessel_y1_kernel_cudaERNS_18TensorIteratorBaseEENKUlvE_clEvENKUlvE0_clEvEUlfE_EEvS5_RKT_EUlibE_EEviT1_.has_recursion, 0
	.set _ZN2at6native32elementwise_kernel_manual_unrollILi128ELi4EZNS0_22gpu_kernel_impl_nocastIZZZNS0_12_GLOBAL__N_121bessel_y1_kernel_cudaERNS_18TensorIteratorBaseEENKUlvE_clEvENKUlvE0_clEvEUlfE_EEvS5_RKT_EUlibE_EEviT1_.has_indirect_call, 0
	.section	.AMDGPU.csdata,"",@progbits
; Kernel info:
; codeLenInByte = 30988
; TotalNumSgprs: 66
; NumVgprs: 28
; NumAgprs: 0
; TotalNumVgprs: 28
; ScratchSize: 0
; MemoryBound: 0
; FloatMode: 240
; IeeeMode: 1
; LDSByteSize: 0 bytes/workgroup (compile time only)
; SGPRBlocks: 8
; VGPRBlocks: 3
; NumSGPRsForWavesPerEU: 66
; NumVGPRsForWavesPerEU: 28
; AccumOffset: 28
; Occupancy: 8
; WaveLimiterHint : 1
; COMPUTE_PGM_RSRC2:SCRATCH_EN: 0
; COMPUTE_PGM_RSRC2:USER_SGPR: 2
; COMPUTE_PGM_RSRC2:TRAP_HANDLER: 0
; COMPUTE_PGM_RSRC2:TGID_X_EN: 1
; COMPUTE_PGM_RSRC2:TGID_Y_EN: 0
; COMPUTE_PGM_RSRC2:TGID_Z_EN: 0
; COMPUTE_PGM_RSRC2:TIDIG_COMP_CNT: 0
; COMPUTE_PGM_RSRC3_GFX90A:ACCUM_OFFSET: 6
; COMPUTE_PGM_RSRC3_GFX90A:TG_SPLIT: 0
	.text
	.p2align	2                               ; -- Begin function _ZN2at6native6invokeIZZZNS0_12_GLOBAL__N_121bessel_y1_kernel_cudaERNS_18TensorIteratorBaseEENKUlvE_clEvENKUlvE0_clEvEUlfE_i15function_traitsIS7_EEENT1_11result_typeERKT_PrKPcPKT0_PKN3c1010ScalarTypeEi
	.type	_ZN2at6native6invokeIZZZNS0_12_GLOBAL__N_121bessel_y1_kernel_cudaERNS_18TensorIteratorBaseEENKUlvE_clEvENKUlvE0_clEvEUlfE_i15function_traitsIS7_EEENT1_11result_typeERKT_PrKPcPKT0_PKN3c1010ScalarTypeEi,@function
_ZN2at6native6invokeIZZZNS0_12_GLOBAL__N_121bessel_y1_kernel_cudaERNS_18TensorIteratorBaseEENKUlvE_clEvENKUlvE0_clEvEUlfE_i15function_traitsIS7_EEENT1_11result_typeERKT_PrKPcPKT0_PKN3c1010ScalarTypeEi: ; @_ZN2at6native6invokeIZZZNS0_12_GLOBAL__N_121bessel_y1_kernel_cudaERNS_18TensorIteratorBaseEENKUlvE_clEvENKUlvE0_clEvEUlfE_i15function_traitsIS7_EEENT1_11result_typeERKT_PrKPcPKT0_PKN3c1010ScalarTypeEi
; %bb.0:
	s_waitcnt vmcnt(0) expcnt(0) lgkmcnt(0)
	v_mul_lo_u32 v4, v4, v2
	v_ashrrev_i32_e32 v5, 31, v4
	v_mov_b32_e32 v2, 10
	v_lshl_add_u64 v[0:1], v[0:1], 0, v[4:5]
	v_cmp_gt_i16_sdwa s[0:1], v3, v2 src0_sel:BYTE_0 src1_sel:DWORD
	s_mov_b64 s[2:3], 0
                                        ; implicit-def: $vgpr2
	s_and_saveexec_b64 s[4:5], s[0:1]
	s_xor_b64 s[0:1], exec, s[4:5]
	s_cbranch_execz .LBB20_49
; %bb.1:
	v_mov_b32_e32 v2, 25
	v_cmp_gt_i16_sdwa s[6:7], v3, v2 src0_sel:BYTE_0 src1_sel:DWORD
	s_mov_b64 s[8:9], 0
	s_mov_b64 s[4:5], 0
                                        ; implicit-def: $vgpr2
	s_and_saveexec_b64 s[10:11], s[6:7]
	s_xor_b64 s[6:7], exec, s[10:11]
	s_cbranch_execz .LBB20_92
; %bb.2:
	v_mov_b32_e32 v2, 28
	v_cmp_gt_i16_sdwa s[4:5], v3, v2 src0_sel:BYTE_0 src1_sel:DWORD
	s_mov_b64 s[10:11], 0
                                        ; implicit-def: $vgpr2
	s_and_saveexec_b64 s[12:13], s[4:5]
	s_xor_b64 s[4:5], exec, s[12:13]
	s_cbranch_execz .LBB20_18
; %bb.3:
	v_mov_b32_e32 v2, 43
	v_cmp_gt_i16_sdwa s[8:9], v3, v2 src0_sel:BYTE_0 src1_sel:DWORD
	s_mov_b64 s[12:13], 0
	s_mov_b64 s[14:15], 0
                                        ; implicit-def: $vgpr2
	s_and_saveexec_b64 s[10:11], s[8:9]
	s_xor_b64 s[8:9], exec, s[10:11]
	s_cbranch_execz .LBB20_13
; %bb.4:
	v_mov_b32_e32 v2, 45
	v_cmp_gt_i16_sdwa s[14:15], v3, v2 src0_sel:BYTE_0 src1_sel:DWORD
	s_mov_b64 s[10:11], 0
                                        ; implicit-def: $vgpr2
	s_and_saveexec_b64 s[16:17], s[14:15]
	s_xor_b64 s[14:15], exec, s[16:17]
	s_cbranch_execz .LBB20_8
; %bb.5:
	v_mov_b32_e32 v2, 46
	v_cmp_eq_u16_sdwa s[18:19], v3, v2 src0_sel:BYTE_0 src1_sel:DWORD
	s_mov_b64 s[16:17], -1
                                        ; implicit-def: $vgpr2
	s_and_saveexec_b64 s[12:13], s[18:19]
	s_cbranch_execz .LBB20_7
; %bb.6:
	flat_load_dword v2, v[0:1]
	s_mov_b64 s[10:11], exec
	s_xor_b64 s[16:17], exec, -1
	s_waitcnt vmcnt(0) lgkmcnt(0)
	v_lshlrev_b32_e32 v2, 16, v2
.LBB20_7:
	s_or_b64 exec, exec, s[12:13]
	s_and_b64 s[12:13], s[10:11], exec
	s_and_b64 s[10:11], s[16:17], exec
                                        ; implicit-def: $vgpr3
.LBB20_8:
	s_andn2_saveexec_b64 s[14:15], s[14:15]
	s_cbranch_execz .LBB20_12
; %bb.9:
	v_mov_b32_e32 v2, 44
	v_cmp_eq_u16_sdwa s[22:23], v3, v2 src0_sel:BYTE_0 src1_sel:DWORD
	s_mov_b64 s[20:21], -1
	s_mov_b64 s[18:19], s[12:13]
                                        ; implicit-def: $vgpr2
	s_and_saveexec_b64 s[16:17], s[22:23]
	s_cbranch_execz .LBB20_11
; %bb.10:
	flat_load_ubyte v2, v[0:1]
	s_movk_i32 s20, 0xff
	v_mov_b32_e32 v3, 0x7f800001
	v_mov_b32_e32 v4, 0x400000
	s_or_b64 s[18:19], s[12:13], exec
	s_waitcnt vmcnt(0) lgkmcnt(0)
	v_lshlrev_b32_e32 v5, 23, v2
	v_cmp_ne_u32_e32 vcc, s20, v2
	s_xor_b64 s[20:21], exec, -1
	s_nop 0
	v_cndmask_b32_e32 v3, v3, v5, vcc
	v_cmp_ne_u32_e32 vcc, 0, v2
	s_nop 1
	v_cndmask_b32_e32 v2, v4, v3, vcc
.LBB20_11:
	s_or_b64 exec, exec, s[16:17]
	s_andn2_b64 s[12:13], s[12:13], exec
	s_and_b64 s[16:17], s[18:19], exec
	s_or_b64 s[12:13], s[12:13], s[16:17]
	s_andn2_b64 s[10:11], s[10:11], exec
	s_and_b64 s[16:17], s[20:21], exec
	s_or_b64 s[10:11], s[10:11], s[16:17]
.LBB20_12:
	s_or_b64 exec, exec, s[14:15]
	s_and_b64 s[14:15], s[12:13], exec
	s_and_b64 s[12:13], s[10:11], exec
                                        ; implicit-def: $vgpr3
.LBB20_13:
	s_andn2_saveexec_b64 s[8:9], s[8:9]
	s_cbranch_execz .LBB20_17
; %bb.14:
	v_mov_b32_e32 v2, 29
	v_cmp_eq_u16_sdwa s[20:21], v3, v2 src0_sel:BYTE_0 src1_sel:DWORD
	s_mov_b64 s[16:17], -1
	s_mov_b64 s[18:19], s[14:15]
                                        ; implicit-def: $vgpr2
	s_and_saveexec_b64 s[10:11], s[20:21]
	s_cbranch_execz .LBB20_16
; %bb.15:
	flat_load_dwordx2 v[2:3], v[0:1]
	s_or_b64 s[18:19], s[14:15], exec
	s_xor_b64 s[16:17], exec, -1
	s_waitcnt vmcnt(0) lgkmcnt(0)
	v_ffbh_u32_e32 v4, v3
	v_min_u32_e32 v4, 32, v4
	v_lshlrev_b64 v[2:3], v4, v[2:3]
	v_min_u32_e32 v2, 1, v2
	v_or_b32_e32 v2, v3, v2
	v_cvt_f32_u32_e32 v2, v2
	v_sub_u32_e32 v3, 32, v4
	v_ldexp_f32 v2, v2, v3
.LBB20_16:
	s_or_b64 exec, exec, s[10:11]
	s_andn2_b64 s[10:11], s[14:15], exec
	s_and_b64 s[14:15], s[18:19], exec
	s_or_b64 s[14:15], s[10:11], s[14:15]
	s_andn2_b64 s[10:11], s[12:13], exec
	s_and_b64 s[12:13], s[16:17], exec
	s_or_b64 s[12:13], s[10:11], s[12:13]
.LBB20_17:
	s_or_b64 exec, exec, s[8:9]
	s_and_b64 s[10:11], s[14:15], exec
	s_and_b64 s[8:9], s[12:13], exec
                                        ; implicit-def: $vgpr3
.LBB20_18:
	s_andn2_saveexec_b64 s[4:5], s[4:5]
	s_cbranch_execz .LBB20_34
; %bb.19:
	v_mov_b32_e32 v2, 26
	v_cmp_gt_i16_sdwa s[12:13], v3, v2 src0_sel:BYTE_0 src1_sel:DWORD
                                        ; implicit-def: $vgpr2
	s_and_saveexec_b64 s[14:15], s[12:13]
	s_xor_b64 s[12:13], exec, s[14:15]
	s_cbranch_execz .LBB20_25
; %bb.20:
	v_mov_b32_e32 v2, 27
	v_cmp_gt_i16_sdwa s[14:15], v3, v2 src0_sel:BYTE_0 src1_sel:DWORD
                                        ; implicit-def: $vgpr2
	s_and_saveexec_b64 s[16:17], s[14:15]
	s_xor_b64 s[14:15], exec, s[16:17]
	s_cbranch_execz .LBB20_22
; %bb.21:
	flat_load_dword v2, v[0:1]
	s_waitcnt vmcnt(0) lgkmcnt(0)
	v_cvt_f32_u32_e32 v2, v2
.LBB20_22:
	s_andn2_saveexec_b64 s[14:15], s[14:15]
	s_cbranch_execz .LBB20_24
; %bb.23:
	flat_load_ushort v2, v[0:1]
	s_waitcnt vmcnt(0) lgkmcnt(0)
	v_cvt_f32_u32_e32 v2, v2
.LBB20_24:
	s_or_b64 exec, exec, s[14:15]
.LBB20_25:
	s_andn2_saveexec_b64 s[12:13], s[12:13]
	s_cbranch_execz .LBB20_33
; %bb.26:
	flat_load_ubyte v3, v[0:1]
	s_movk_i32 s14, 0x7f
	s_waitcnt vmcnt(0) lgkmcnt(0)
	v_cmp_lt_i16_e32 vcc, s14, v3
	s_mov_b64 s[14:15], 0
	s_and_saveexec_b64 s[16:17], vcc
	s_xor_b64 s[16:17], exec, s[16:17]
	s_cbranch_execz .LBB20_127
; %bb.27:
	s_movk_i32 s14, 0x80
	v_cmp_eq_u16_e32 vcc, s14, v3
	s_mov_b64 s[14:15], -1
	s_and_saveexec_b64 s[18:19], vcc
; %bb.28:
	s_xor_b64 s[14:15], exec, -1
; %bb.29:
	s_or_b64 exec, exec, s[18:19]
	s_and_b64 s[14:15], s[14:15], exec
	s_or_saveexec_b64 s[16:17], s[16:17]
	v_mov_b32_e32 v2, 0x7f800001
	s_xor_b64 exec, exec, s[16:17]
	s_cbranch_execnz .LBB20_128
.LBB20_30:
	s_or_b64 exec, exec, s[16:17]
	s_and_saveexec_b64 s[16:17], s[14:15]
	s_cbranch_execz .LBB20_32
.LBB20_31:
	v_lshlrev_b32_e32 v2, 24, v3
	v_and_b32_e32 v3, 0xffff, v3
	v_and_b32_e32 v4, 7, v3
	v_ffbh_u32_e32 v6, v4
	v_min_u32_e32 v6, 32, v6
	v_subrev_u32_e32 v7, 28, v6
	v_bfe_u32 v5, v3, 3, 4
	v_lshlrev_b32_e32 v3, v7, v3
	v_sub_u32_e32 v6, 29, v6
	v_and_b32_e32 v3, 7, v3
	v_cmp_eq_u32_e32 vcc, 0, v5
	v_and_b32_e32 v2, 0x80000000, v2
	s_nop 0
	v_cndmask_b32_e32 v5, v5, v6, vcc
	v_cndmask_b32_e32 v3, v4, v3, vcc
	v_mov_b32_e32 v4, 0x3b800000
	v_lshlrev_b32_e32 v3, 20, v3
	v_lshl_add_u32 v4, v5, 23, v4
	v_or3_b32 v2, v2, v4, v3
.LBB20_32:
	s_or_b64 exec, exec, s[16:17]
.LBB20_33:
	s_or_b64 exec, exec, s[12:13]
	s_or_b64 s[10:11], s[10:11], exec
.LBB20_34:
	s_or_b64 exec, exec, s[4:5]
	s_and_b64 s[4:5], s[10:11], exec
	s_and_b64 s[8:9], s[8:9], exec
                                        ; implicit-def: $vgpr3
	s_andn2_saveexec_b64 s[6:7], s[6:7]
	s_cbranch_execnz .LBB20_93
.LBB20_35:
	s_or_b64 exec, exec, s[6:7]
	s_and_saveexec_b64 s[6:7], s[8:9]
	s_cbranch_execnz .LBB20_118
.LBB20_36:
	s_or_b64 exec, exec, s[6:7]
	s_and_saveexec_b64 s[6:7], s[2:3]
	s_xor_b64 s[2:3], exec, s[6:7]
	s_cbranch_execz .LBB20_38
.LBB20_37:
	flat_load_ubyte v0, v[0:1]
	s_or_b64 s[4:5], s[4:5], exec
	s_waitcnt vmcnt(0) lgkmcnt(0)
	v_cmp_ne_u16_e32 vcc, 0, v0
	s_nop 1
	v_cndmask_b32_e64 v2, 0, 1.0, vcc
.LBB20_38:
	s_or_b64 exec, exec, s[2:3]
	s_and_b64 s[2:3], s[4:5], exec
                                        ; implicit-def: $vgpr3
                                        ; implicit-def: $vgpr0_vgpr1
	s_andn2_saveexec_b64 s[0:1], s[0:1]
	s_cbranch_execnz .LBB20_50
.LBB20_39:
	s_or_b64 exec, exec, s[0:1]
                                        ; implicit-def: $vgpr0
	s_and_saveexec_b64 s[6:7], s[2:3]
	s_cbranch_execz .LBB20_91
.LBB20_40:
	s_mov_b32 s0, 0x40a00000
	s_waitcnt vmcnt(0) lgkmcnt(0)
	v_cmp_ge_f32_e32 vcc, s0, v2
                                        ; implicit-def: $vgpr0
	s_and_saveexec_b64 s[0:1], vcc
	s_xor_b64 s[2:3], exec, s[0:1]
	s_cbranch_execz .LBB20_46
; %bb.41:
	v_cmp_neq_f32_e32 vcc, 0, v2
	v_mov_b32_e32 v0, 0xff800000
	s_and_saveexec_b64 s[4:5], vcc
	s_cbranch_execz .LBB20_45
; %bb.42:
	v_cmp_nge_f32_e32 vcc, 0, v2
	v_mov_b32_e32 v0, 0x7fc00000
	s_and_saveexec_b64 s[8:9], vcc
	s_cbranch_execz .LBB20_44
; %bb.43:
	v_mul_f32_e32 v0, v2, v2
	v_mov_b32_e32 v1, 0x4414934d
	v_fmac_f32_e32 v1, 0, v0
	v_fmaak_f32 v1, v0, v1, 0x48660b06
	s_mov_b32 s0, 0x4e9695f3
	v_mul_f32_e32 v4, 0, v0
	v_mul_f32_e32 v5, v0, v1
	s_mov_b32 s1, 0x4c8c277d
	v_pk_add_f32 v[6:7], v[4:5], s[0:1]
	s_mov_b32 s0, 0xd316b96b
	s_mov_b32 s1, 0x508bc61d
	v_pk_fma_f32 v[6:7], v[0:1], v[6:7], s[0:1] op_sel_hi:[0,1,1]
	s_mov_b32 s0, 0x56d04aa6
	s_mov_b32 s1, 0x5461faf8
	v_pk_fma_f32 v[6:7], v[0:1], v[6:7], s[0:1] op_sel_hi:[0,1,1]
	;; [unrolled: 3-line block ×5, first 2 shown]
	v_div_scale_f32 v1, s[0:1], v7, v7, v6
	v_rcp_f32_e32 v3, v1
	s_mov_b32 s0, 0xce5691e2
	s_mov_b32 s1, 0x548a37dc
	v_fma_f32 v5, -v1, v3, 1.0
	v_fmac_f32_e32 v3, v5, v3
	v_div_scale_f32 v5, vcc, v6, v7, v6
	v_mul_f32_e32 v8, v5, v3
	v_fma_f32 v9, -v1, v8, v5
	v_fmac_f32_e32 v8, v9, v3
	v_fma_f32 v1, -v1, v8, v5
	v_mov_b32_e32 v5, 0x441b3589
	v_fmac_f32_e32 v5, 0, v0
	v_fmaak_f32 v5, v0, v5, 0x487af6d0
	v_fmaak_f32 v5, v0, v5, 0x4c9f4aa7
	;; [unrolled: 1-line block ×3, first 2 shown]
	v_mul_f32_e32 v5, v0, v5
	v_pk_add_f32 v[4:5], v[4:5], s[0:1]
	s_mov_b32 s0, 0x52d295d0
	s_mov_b32 s1, 0x58325852
	v_pk_fma_f32 v[4:5], v[0:1], v[4:5], s[0:1] op_sel_hi:[0,1,1]
	s_mov_b32 s0, 0xd6845497
	s_mov_b32 s1, 0x5b9f0600
	v_pk_fma_f32 v[4:5], v[0:1], v[4:5], s[0:1] op_sel_hi:[0,1,1]
	;; [unrolled: 3-line block ×3, first 2 shown]
	v_div_scale_f32 v9, s[0:1], v5, v5, v4
	v_rcp_f32_e32 v10, v9
	v_div_fmas_f32 v1, v1, v3, v8
	v_div_fixup_f32 v3, v1, v7, v6
	s_mov_b32 s0, 0xc244dfb3
	v_fma_f32 v1, -v9, v10, 1.0
	v_fmac_f32_e32 v10, v1, v10
	v_div_scale_f32 v1, vcc, v4, v5, v4
	v_mul_f32_e32 v6, v1, v10
	v_fma_f32 v7, -v9, v6, v1
	v_fmac_f32_e32 v6, v7, v10
	v_fma_f32 v1, -v9, v6, v1
	v_div_fmas_f32 v1, v1, v10, v6
	v_div_fixup_f32 v1, v1, v5, v4
	s_mov_b32 s1, 0xc16ae95a
	v_mul_f32_e32 v4, v2, v1
	v_pk_add_f32 v[0:1], v[0:1], s[0:1] op_sel_hi:[0,1]
	s_mov_b32 s0, 0x800000
	v_cmp_gt_f32_e32 vcc, s0, v2
	v_mul_f32_e32 v1, v1, v4
	v_mul_f32_e32 v0, v0, v1
	v_cndmask_b32_e64 v5, 0, 32, vcc
	v_ldexp_f32 v5, v2, v5
	v_log_f32_e32 v5, v5
	s_mov_b32 s0, 0x3f317217
	v_mov_b32_e32 v6, 0x41b17218
	v_cndmask_b32_e32 v6, 0, v6, vcc
	v_mul_f32_e32 v1, 0x3f317217, v5
	v_fma_f32 v1, v5, s0, -v1
	v_fmamk_f32 v1, v5, 0x3377d1cf, v1
	s_mov_b32 s0, 0x7f800000
	v_fmac_f32_e32 v1, 0x3f317217, v5
	v_cmp_lt_f32_e64 s[0:1], |v5|, s0
	s_nop 1
	v_cndmask_b32_e64 v1, v5, v1, s[0:1]
	v_div_scale_f32 v4, s[0:1], v2, v2, -1.0
	v_rcp_f32_e32 v5, v4
	v_sub_f32_e32 v1, v1, v6
	v_fma_f32 v6, -v4, v5, 1.0
	v_fmac_f32_e32 v5, v6, v5
	v_div_scale_f32 v6, vcc, -1.0, v2, -1.0
	v_mul_f32_e32 v7, v6, v5
	v_fma_f32 v8, -v4, v7, v6
	v_fmac_f32_e32 v7, v8, v5
	v_fma_f32 v4, -v4, v7, v6
	v_div_fmas_f32 v4, v4, v5, v7
	v_div_fixup_f32 v4, v4, v2, -1.0
	v_fmac_f32_e32 v4, v1, v0
	v_mul_f32_e32 v0, 0x3f22f983, v4
	v_fmac_f32_e32 v0, v2, v3
.LBB20_44:
	s_or_b64 exec, exec, s[8:9]
.LBB20_45:
	s_or_b64 exec, exec, s[4:5]
                                        ; implicit-def: $vgpr2
.LBB20_46:
	s_andn2_saveexec_b64 s[8:9], s[2:3]
	s_cbranch_execz .LBB20_126
; %bb.47:
	v_add_f32_e32 v0, 0xc016cbe4, v2
	v_and_b32_e32 v1, 0x7fffffff, v0
	s_brev_b32 s0, 18
	v_cmp_nlt_f32_e64 s[10:11], |v0|, s0
	v_lshrrev_b32_e32 v5, 23, v1
                                        ; implicit-def: $vgpr3
                                        ; implicit-def: $vgpr4
	s_and_saveexec_b64 s[0:1], s[10:11]
	s_xor_b64 s[12:13], exec, s[0:1]
	s_cbranch_execz .LBB20_119
; %bb.48:
	v_add_u32_e32 v3, 0xffffff88, v5
	v_not_b32_e32 v4, 63
	v_cmp_lt_u32_e32 vcc, 63, v3
	s_mov_b32 s4, 0xfe5163ab
	v_mov_b32_e32 v9, 0
	v_cndmask_b32_e32 v4, 0, v4, vcc
	v_add_u32_e32 v3, v4, v3
	v_not_b32_e32 v4, 31
	v_cmp_lt_u32_e64 s[0:1], 31, v3
	s_nop 1
	v_cndmask_b32_e64 v6, 0, v4, s[0:1]
	v_add_u32_e32 v3, v6, v3
	v_cmp_lt_u32_e64 s[2:3], 31, v3
	s_nop 1
	v_cndmask_b32_e64 v4, 0, v4, s[2:3]
	v_add_u32_e32 v3, v4, v3
	v_and_b32_e32 v4, 0x7fffff, v1
	v_or_b32_e32 v4, 0x800000, v4
	v_mad_u64_u32 v[6:7], s[4:5], v4, s4, 0
	v_mov_b32_e32 v8, v7
	s_mov_b32 s4, 0x3c439041
	v_mad_u64_u32 v[10:11], s[4:5], v4, s4, v[8:9]
	v_mov_b32_e32 v8, v11
	s_mov_b32 s4, 0xdb629599
	;; [unrolled: 3-line block ×6, first 2 shown]
	v_mad_u64_u32 v[8:9], s[4:5], v4, s4, v[8:9]
	v_cndmask_b32_e32 v7, v18, v14, vcc
	v_cndmask_b32_e32 v4, v8, v16, vcc
	;; [unrolled: 1-line block ×3, first 2 shown]
	v_cndmask_b32_e64 v8, v4, v7, s[0:1]
	v_cndmask_b32_e64 v4, v9, v4, s[0:1]
	v_cndmask_b32_e32 v9, v16, v12, vcc
	v_cndmask_b32_e64 v7, v7, v9, s[0:1]
	v_cndmask_b32_e64 v4, v4, v8, s[2:3]
	;; [unrolled: 1-line block ×3, first 2 shown]
	v_sub_u32_e32 v11, 32, v3
	v_alignbit_b32 v13, v4, v8, v11
	v_cmp_eq_u32_e64 s[4:5], 0, v3
	v_cndmask_b32_e32 v6, v12, v6, vcc
	s_nop 0
	v_cndmask_b32_e64 v3, v13, v4, s[4:5]
	v_cndmask_b32_e32 v4, v14, v10, vcc
	v_cndmask_b32_e64 v9, v9, v4, s[0:1]
	v_cndmask_b32_e64 v7, v7, v9, s[2:3]
	v_alignbit_b32 v10, v8, v7, v11
	v_cndmask_b32_e64 v4, v4, v6, s[0:1]
	v_cndmask_b32_e64 v8, v10, v8, s[4:5]
	v_bfe_u32 v14, v3, 29, 1
	v_cndmask_b32_e64 v4, v9, v4, s[2:3]
	v_alignbit_b32 v10, v3, v8, 30
	v_sub_u32_e32 v15, 0, v14
	v_alignbit_b32 v6, v7, v4, v11
	v_xor_b32_e32 v10, v10, v15
	v_cndmask_b32_e64 v6, v6, v7, s[4:5]
	v_alignbit_b32 v7, v8, v6, 30
	v_ffbh_u32_e32 v8, v10
	v_min_u32_e32 v8, 32, v8
	v_alignbit_b32 v4, v6, v4, 30
	v_xor_b32_e32 v7, v7, v15
	v_sub_u32_e32 v9, 31, v8
	v_xor_b32_e32 v4, v4, v15
	v_alignbit_b32 v10, v10, v7, v9
	v_alignbit_b32 v4, v7, v4, v9
	;; [unrolled: 1-line block ×3, first 2 shown]
	v_ffbh_u32_e32 v7, v6
	v_min_u32_e32 v7, 32, v7
	v_lshrrev_b32_e32 v13, 29, v3
	v_not_b32_e32 v9, v7
	v_alignbit_b32 v4, v6, v4, v9
	v_lshlrev_b32_e32 v6, 31, v13
	v_or_b32_e32 v9, 0x33000000, v6
	v_add_lshl_u32 v7, v7, v8, 23
	v_lshrrev_b32_e32 v4, 9, v4
	v_sub_u32_e32 v7, v9, v7
	v_or_b32_e32 v6, 0.5, v6
	v_lshlrev_b32_e32 v8, 23, v8
	v_or_b32_e32 v4, v7, v4
	v_lshrrev_b32_e32 v7, 9, v10
	v_sub_u32_e32 v6, v6, v8
	v_or_b32_e32 v6, v7, v6
	s_mov_b32 s0, 0x3fc90fda
	v_mul_f32_e32 v7, 0x3fc90fda, v6
	v_fma_f32 v8, v6, s0, -v7
	v_fmamk_f32 v6, v6, 0x33a22168, v8
	v_fmac_f32_e32 v6, 0x3fc90fda, v4
	v_lshrrev_b32_e32 v3, 30, v3
	v_add_f32_e32 v4, v7, v6
	v_add_u32_e32 v3, v14, v3
	s_andn2_saveexec_b64 s[0:1], s[12:13]
	s_cbranch_execz .LBB20_121
	s_branch .LBB20_120
.LBB20_49:
	s_andn2_saveexec_b64 s[0:1], s[0:1]
	s_cbranch_execz .LBB20_39
.LBB20_50:
	v_mov_b32_e32 v2, 4
	v_cmp_gt_i16_sdwa s[4:5], v3, v2 src0_sel:BYTE_0 src1_sel:DWORD
                                        ; implicit-def: $vgpr2
	s_and_saveexec_b64 s[6:7], s[4:5]
	s_xor_b64 s[4:5], exec, s[6:7]
	s_cbranch_execz .LBB20_72
; %bb.51:
	v_mov_b32_e32 v2, 7
	v_cmp_gt_i16_sdwa s[6:7], v3, v2 src0_sel:BYTE_0 src1_sel:DWORD
                                        ; implicit-def: $vgpr2
	s_and_saveexec_b64 s[8:9], s[6:7]
	s_xor_b64 s[6:7], exec, s[8:9]
	s_cbranch_execz .LBB20_61
; %bb.52:
	;; [unrolled: 7-line block ×4, first 2 shown]
	flat_load_dwordx2 v[0:1], v[0:1]
	s_waitcnt vmcnt(0) lgkmcnt(0)
	v_cvt_f32_f64_e32 v2, v[0:1]
                                        ; implicit-def: $vgpr0_vgpr1
.LBB20_55:
	s_andn2_saveexec_b64 s[10:11], s[10:11]
	s_cbranch_execz .LBB20_57
; %bb.56:
	flat_load_dword v2, v[0:1]
.LBB20_57:
	s_or_b64 exec, exec, s[10:11]
                                        ; implicit-def: $vgpr0_vgpr1
.LBB20_58:
	s_andn2_saveexec_b64 s[8:9], s[8:9]
	s_cbranch_execz .LBB20_60
; %bb.59:
	flat_load_dword v0, v[0:1]
	s_waitcnt vmcnt(0) lgkmcnt(0)
	v_cvt_f32_f16_e32 v2, v0
.LBB20_60:
	s_or_b64 exec, exec, s[8:9]
                                        ; implicit-def: $vgpr0_vgpr1
                                        ; implicit-def: $vgpr3
.LBB20_61:
	s_andn2_saveexec_b64 s[6:7], s[6:7]
	s_cbranch_execz .LBB20_71
; %bb.62:
	s_waitcnt vmcnt(0) lgkmcnt(0)
	v_mov_b32_e32 v2, 5
	v_cmp_gt_i16_sdwa s[8:9], v3, v2 src0_sel:BYTE_0 src1_sel:DWORD
                                        ; implicit-def: $vgpr2
	s_and_saveexec_b64 s[10:11], s[8:9]
	s_xor_b64 s[8:9], exec, s[10:11]
	s_cbranch_execz .LBB20_68
; %bb.63:
	v_mov_b32_e32 v2, 6
	v_cmp_gt_i16_sdwa s[10:11], v3, v2 src0_sel:BYTE_0 src1_sel:DWORD
                                        ; implicit-def: $vgpr2
	s_and_saveexec_b64 s[12:13], s[10:11]
	s_xor_b64 s[10:11], exec, s[12:13]
	s_cbranch_execz .LBB20_65
; %bb.64:
	flat_load_dwordx2 v[0:1], v[0:1]
	s_waitcnt vmcnt(0) lgkmcnt(0)
	v_cvt_f32_f64_e32 v2, v[0:1]
                                        ; implicit-def: $vgpr0_vgpr1
.LBB20_65:
	s_andn2_saveexec_b64 s[10:11], s[10:11]
	s_cbranch_execz .LBB20_67
; %bb.66:
	flat_load_dword v2, v[0:1]
.LBB20_67:
	s_or_b64 exec, exec, s[10:11]
                                        ; implicit-def: $vgpr0_vgpr1
.LBB20_68:
	s_andn2_saveexec_b64 s[8:9], s[8:9]
	s_cbranch_execz .LBB20_70
; %bb.69:
	flat_load_ushort v0, v[0:1]
	s_waitcnt vmcnt(0) lgkmcnt(0)
	v_cvt_f32_f16_e32 v2, v0
.LBB20_70:
	s_or_b64 exec, exec, s[8:9]
.LBB20_71:
	s_or_b64 exec, exec, s[6:7]
                                        ; implicit-def: $vgpr3
                                        ; implicit-def: $vgpr0_vgpr1
.LBB20_72:
	s_andn2_saveexec_b64 s[4:5], s[4:5]
	s_cbranch_execz .LBB20_90
; %bb.73:
	s_waitcnt vmcnt(0) lgkmcnt(0)
	v_mov_b32_e32 v2, 1
	v_cmp_gt_i16_sdwa s[6:7], v3, v2 src0_sel:BYTE_0 src1_sel:DWORD
                                        ; implicit-def: $vgpr2
	s_and_saveexec_b64 s[8:9], s[6:7]
	s_xor_b64 s[6:7], exec, s[8:9]
	s_cbranch_execz .LBB20_83
; %bb.74:
	v_mov_b32_e32 v2, 2
	v_cmp_gt_i16_sdwa s[8:9], v3, v2 src0_sel:BYTE_0 src1_sel:DWORD
                                        ; implicit-def: $vgpr2
	s_and_saveexec_b64 s[10:11], s[8:9]
	s_xor_b64 s[8:9], exec, s[10:11]
	s_cbranch_execz .LBB20_80
; %bb.75:
	;; [unrolled: 7-line block ×3, first 2 shown]
	flat_load_dwordx2 v[0:1], v[0:1]
	s_waitcnt vmcnt(0) lgkmcnt(0)
	v_xor_b32_e32 v3, v0, v1
	v_ffbh_i32_e32 v2, v1
	v_ashrrev_i32_e32 v3, 31, v3
	v_add_u32_e32 v2, -1, v2
	v_add_u32_e32 v3, 32, v3
	v_min_u32_e32 v2, v2, v3
	v_lshlrev_b64 v[0:1], v2, v[0:1]
	v_min_u32_e32 v0, 1, v0
	v_or_b32_e32 v0, v1, v0
	v_cvt_f32_i32_e32 v0, v0
	v_sub_u32_e32 v1, 32, v2
	v_ldexp_f32 v2, v0, v1
                                        ; implicit-def: $vgpr0_vgpr1
.LBB20_77:
	s_andn2_saveexec_b64 s[10:11], s[10:11]
	s_cbranch_execz .LBB20_79
; %bb.78:
	flat_load_dword v0, v[0:1]
	s_waitcnt vmcnt(0) lgkmcnt(0)
	v_cvt_f32_i32_e32 v2, v0
.LBB20_79:
	s_or_b64 exec, exec, s[10:11]
                                        ; implicit-def: $vgpr0_vgpr1
.LBB20_80:
	s_andn2_saveexec_b64 s[8:9], s[8:9]
	s_cbranch_execz .LBB20_82
; %bb.81:
	flat_load_sshort v0, v[0:1]
	s_waitcnt vmcnt(0) lgkmcnt(0)
	v_cvt_f32_i32_e32 v2, v0
.LBB20_82:
	s_or_b64 exec, exec, s[8:9]
                                        ; implicit-def: $vgpr0_vgpr1
                                        ; implicit-def: $vgpr3
.LBB20_83:
	s_andn2_saveexec_b64 s[6:7], s[6:7]
	s_cbranch_execz .LBB20_89
; %bb.84:
	v_mov_b32_e32 v2, 0
	v_cmp_gt_i16_sdwa s[8:9], v3, v2 src0_sel:BYTE_0 src1_sel:DWORD
                                        ; implicit-def: $vgpr2
	s_and_saveexec_b64 s[10:11], s[8:9]
	s_xor_b64 s[8:9], exec, s[10:11]
	s_cbranch_execz .LBB20_86
; %bb.85:
	flat_load_sbyte v0, v[0:1]
	s_waitcnt vmcnt(0) lgkmcnt(0)
	v_cvt_f32_i32_e32 v2, v0
                                        ; implicit-def: $vgpr0_vgpr1
.LBB20_86:
	s_andn2_saveexec_b64 s[8:9], s[8:9]
	s_cbranch_execz .LBB20_88
; %bb.87:
	flat_load_ubyte v0, v[0:1]
	s_waitcnt vmcnt(0) lgkmcnt(0)
	v_cvt_f32_ubyte0_e32 v2, v0
.LBB20_88:
	s_or_b64 exec, exec, s[8:9]
.LBB20_89:
	s_or_b64 exec, exec, s[6:7]
.LBB20_90:
	s_or_b64 exec, exec, s[4:5]
	s_or_b64 s[2:3], s[2:3], exec
	s_or_b64 exec, exec, s[0:1]
                                        ; implicit-def: $vgpr0
	s_and_saveexec_b64 s[6:7], s[2:3]
	s_cbranch_execnz .LBB20_40
.LBB20_91:
	s_or_b64 exec, exec, s[6:7]
	s_waitcnt vmcnt(0) lgkmcnt(0)
	s_setpc_b64 s[30:31]
.LBB20_92:
	s_andn2_saveexec_b64 s[6:7], s[6:7]
	s_cbranch_execz .LBB20_35
.LBB20_93:
	v_mov_b32_e32 v2, 22
	v_cmp_gt_i16_sdwa s[2:3], v3, v2 src0_sel:BYTE_0 src1_sel:DWORD
	s_mov_b64 s[10:11], s[4:5]
                                        ; implicit-def: $vgpr2
	s_and_saveexec_b64 s[12:13], s[2:3]
	s_xor_b64 s[2:3], exec, s[12:13]
	s_cbranch_execz .LBB20_109
; %bb.94:
	v_mov_b32_e32 v2, 23
	v_cmp_gt_i16_sdwa s[10:11], v3, v2 src0_sel:BYTE_0 src1_sel:DWORD
                                        ; implicit-def: $vgpr2
	s_and_saveexec_b64 s[12:13], s[10:11]
	s_xor_b64 s[10:11], exec, s[12:13]
	s_cbranch_execz .LBB20_106
; %bb.95:
	v_mov_b32_e32 v2, 24
	v_cmp_gt_i16_sdwa s[12:13], v3, v2 src0_sel:BYTE_0 src1_sel:DWORD
                                        ; implicit-def: $vgpr2
	s_and_saveexec_b64 s[14:15], s[12:13]
	s_xor_b64 s[12:13], exec, s[14:15]
	s_cbranch_execz .LBB20_103
; %bb.96:
	flat_load_ubyte v3, v[0:1]
	s_movk_i32 s14, 0x7f
	s_waitcnt vmcnt(0) lgkmcnt(0)
	v_cmp_lt_i16_e32 vcc, s14, v3
	s_mov_b64 s[14:15], 0
	s_and_saveexec_b64 s[16:17], vcc
	s_xor_b64 s[16:17], exec, s[16:17]
	s_cbranch_execz .LBB20_129
; %bb.97:
	s_movk_i32 s14, 0x80
	v_cmp_eq_u16_e32 vcc, s14, v3
	s_mov_b64 s[14:15], -1
	s_and_saveexec_b64 s[18:19], vcc
; %bb.98:
	s_xor_b64 s[14:15], exec, -1
; %bb.99:
	s_or_b64 exec, exec, s[18:19]
	s_and_b64 s[14:15], s[14:15], exec
	s_or_saveexec_b64 s[16:17], s[16:17]
	v_mov_b32_e32 v2, 0x7f800001
	s_xor_b64 exec, exec, s[16:17]
	s_cbranch_execnz .LBB20_130
.LBB20_100:
	s_or_b64 exec, exec, s[16:17]
	s_and_saveexec_b64 s[16:17], s[14:15]
	s_cbranch_execz .LBB20_102
.LBB20_101:
	v_lshlrev_b32_e32 v2, 24, v3
	v_and_b32_e32 v3, 0xffff, v3
	v_and_b32_e32 v4, 3, v3
	v_ffbh_u32_e32 v6, v4
	v_min_u32_e32 v6, 32, v6
	v_subrev_u32_e32 v7, 29, v6
	v_bfe_u32 v5, v3, 2, 5
	v_lshlrev_b32_e32 v3, v7, v3
	v_sub_u32_e32 v6, 30, v6
	v_and_b32_e32 v3, 3, v3
	v_cmp_eq_u32_e32 vcc, 0, v5
	v_and_b32_e32 v2, 0x80000000, v2
	s_nop 0
	v_cndmask_b32_e32 v5, v5, v6, vcc
	v_cndmask_b32_e32 v3, v4, v3, vcc
	v_mov_b32_e32 v4, 0x37800000
	v_lshlrev_b32_e32 v3, 21, v3
	v_lshl_add_u32 v4, v5, 23, v4
	v_or3_b32 v2, v2, v4, v3
.LBB20_102:
	s_or_b64 exec, exec, s[16:17]
.LBB20_103:
	s_andn2_saveexec_b64 s[12:13], s[12:13]
	s_cbranch_execz .LBB20_105
; %bb.104:
	flat_load_ubyte v2, v[0:1]
	s_mov_b32 s14, 0x7f800000
	s_waitcnt vmcnt(0) lgkmcnt(0)
	v_lshlrev_b32_e32 v2, 24, v2
	v_and_b32_e32 v3, 0x7f000000, v2
	v_ffbh_u32_e32 v4, v3
	v_min_u32_e32 v4, 32, v4
	v_sub_u32_e64 v4, v4, 4 clamp
	v_lshlrev_b32_e32 v6, v4, v3
	v_lshlrev_b32_e32 v4, 23, v4
	v_lshrrev_b32_e32 v6, 4, v6
	v_add_u32_e32 v5, 0x1000000, v3
	v_sub_u32_e32 v4, v6, v4
	v_ashrrev_i32_e32 v5, 8, v5
	v_add_u32_e32 v4, 0x3c000000, v4
	v_and_or_b32 v4, v5, s14, v4
	v_cmp_ne_u32_e32 vcc, 0, v3
	s_brev_b32 s14, 1
	s_nop 0
	v_cndmask_b32_e32 v3, 0, v4, vcc
	v_and_or_b32 v2, v2, s14, v3
.LBB20_105:
	s_or_b64 exec, exec, s[12:13]
.LBB20_106:
	s_andn2_saveexec_b64 s[10:11], s[10:11]
	s_cbranch_execz .LBB20_108
; %bb.107:
	flat_load_ubyte v2, v[0:1]
	s_movk_i32 s12, 0x7f00
	s_brev_b32 s13, 16
	s_waitcnt vmcnt(0) lgkmcnt(0)
	v_lshlrev_b16_e32 v3, 8, v2
	v_lshlrev_b32_e32 v2, 25, v2
	v_lshrrev_b32_e32 v4, 4, v2
	v_and_or_b32 v5, v3, s12, 0.5
	v_or_b32_e32 v4, 0x70000000, v4
	v_add_f32_e32 v5, -0.5, v5
	v_mul_f32_e32 v4, 0x7800000, v4
	v_cmp_gt_u32_e32 vcc, s13, v2
	v_bfe_i32 v3, v3, 0, 16
	s_brev_b32 s12, 1
	v_cndmask_b32_e32 v2, v4, v5, vcc
	v_and_or_b32 v2, v3, s12, v2
.LBB20_108:
	s_or_b64 exec, exec, s[10:11]
	s_or_b64 s[10:11], s[4:5], exec
                                        ; implicit-def: $vgpr3
.LBB20_109:
	s_or_saveexec_b64 s[2:3], s[2:3]
	s_mov_b64 s[14:15], 0
	s_mov_b64 s[12:13], s[8:9]
	s_xor_b64 exec, exec, s[2:3]
	s_cbranch_execz .LBB20_117
; %bb.110:
	v_mov_b32_e32 v2, 14
	v_cmp_gt_i16_sdwa s[16:17], v3, v2 src0_sel:BYTE_0 src1_sel:DWORD
	s_mov_b64 s[12:13], s[8:9]
	s_mov_b64 s[14:15], s[10:11]
                                        ; implicit-def: $vgpr2
	s_and_saveexec_b64 s[18:19], s[16:17]
	s_xor_b64 s[16:17], exec, s[18:19]
	s_cbranch_execz .LBB20_114
; %bb.111:
	v_mov_b32_e32 v2, 15
	v_cmp_eq_u16_sdwa s[20:21], v3, v2 src0_sel:BYTE_0 src1_sel:DWORD
	s_mov_b64 s[12:13], -1
	s_mov_b64 s[14:15], s[10:11]
                                        ; implicit-def: $vgpr2
	s_and_saveexec_b64 s[18:19], s[20:21]
	s_cbranch_execz .LBB20_113
; %bb.112:
	flat_load_ushort v2, v[0:1]
	s_or_b64 s[14:15], s[10:11], exec
	s_xor_b64 s[12:13], exec, -1
	s_waitcnt vmcnt(0) lgkmcnt(0)
	v_lshlrev_b32_e32 v2, 16, v2
.LBB20_113:
	s_or_b64 exec, exec, s[18:19]
	s_andn2_b64 s[18:19], s[10:11], exec
	s_and_b64 s[14:15], s[14:15], exec
	s_or_b64 s[14:15], s[18:19], s[14:15]
	s_andn2_b64 s[18:19], s[8:9], exec
	s_and_b64 s[12:13], s[12:13], exec
	s_or_b64 s[12:13], s[18:19], s[12:13]
                                        ; implicit-def: $vgpr3
.LBB20_114:
	s_or_saveexec_b64 s[16:17], s[16:17]
	s_mov_b64 s[18:19], 0
	s_xor_b64 exec, exec, s[16:17]
; %bb.115:
	v_mov_b32_e32 v4, 11
	v_cmp_ne_u16_sdwa s[20:21], v3, v4 src0_sel:BYTE_0 src1_sel:DWORD
	s_andn2_b64 s[12:13], s[12:13], exec
	s_and_b64 s[20:21], s[20:21], exec
	s_mov_b64 s[18:19], exec
	s_or_b64 s[12:13], s[12:13], s[20:21]
; %bb.116:
	s_or_b64 exec, exec, s[16:17]
	s_andn2_b64 s[10:11], s[10:11], exec
	s_and_b64 s[14:15], s[14:15], exec
	s_andn2_b64 s[16:17], s[8:9], exec
	s_and_b64 s[12:13], s[12:13], exec
	s_or_b64 s[10:11], s[10:11], s[14:15]
	s_and_b64 s[14:15], s[18:19], exec
	s_or_b64 s[12:13], s[16:17], s[12:13]
.LBB20_117:
	s_or_b64 exec, exec, s[2:3]
	s_andn2_b64 s[2:3], s[4:5], exec
	s_and_b64 s[4:5], s[10:11], exec
	s_andn2_b64 s[8:9], s[8:9], exec
	s_and_b64 s[10:11], s[12:13], exec
	s_or_b64 s[4:5], s[2:3], s[4:5]
	s_and_b64 s[2:3], s[14:15], exec
	s_or_b64 s[8:9], s[8:9], s[10:11]
	s_or_b64 exec, exec, s[6:7]
	s_and_saveexec_b64 s[6:7], s[8:9]
	s_cbranch_execz .LBB20_36
.LBB20_118:
	s_trap 2
	; divergent unreachable
	s_andn2_b64 s[2:3], s[2:3], exec
	s_or_b64 exec, exec, s[6:7]
	s_and_saveexec_b64 s[6:7], s[2:3]
	s_xor_b64 s[2:3], exec, s[6:7]
	s_cbranch_execnz .LBB20_37
	s_branch .LBB20_38
.LBB20_119:
	s_andn2_saveexec_b64 s[0:1], s[12:13]
	s_cbranch_execz .LBB20_121
.LBB20_120:
	s_mov_b32 s2, 0x3f22f983
	v_mul_f32_e64 v3, |v0|, s2
	v_rndne_f32_e32 v4, v3
	s_mov_b32 s2, 0xbfc90fda
	v_cvt_i32_f32_e32 v3, v4
	v_fma_f32 v6, v4, s2, |v0|
	v_fmamk_f32 v6, v4, 0xb3a22168, v6
	v_fmamk_f32 v4, v4, 0xa7c234c4, v6
.LBB20_121:
	s_or_b64 exec, exec, s[0:1]
                                        ; implicit-def: $vgpr6
                                        ; implicit-def: $vgpr7
	s_and_saveexec_b64 s[0:1], s[10:11]
	s_xor_b64 s[10:11], exec, s[0:1]
	s_cbranch_execz .LBB20_123
; %bb.122:
	v_add_u32_e32 v5, 0xffffff88, v5
	v_not_b32_e32 v6, 63
	v_cmp_lt_u32_e32 vcc, 63, v5
	s_mov_b32 s4, 0xfe5163ab
	v_mov_b32_e32 v9, 0
	v_cndmask_b32_e32 v6, 0, v6, vcc
	v_add_u32_e32 v5, v6, v5
	v_not_b32_e32 v6, 31
	v_cmp_lt_u32_e64 s[0:1], 31, v5
	s_nop 1
	v_cndmask_b32_e64 v7, 0, v6, s[0:1]
	v_add_u32_e32 v5, v7, v5
	v_cmp_lt_u32_e64 s[2:3], 31, v5
	s_nop 1
	v_cndmask_b32_e64 v6, 0, v6, s[2:3]
	v_add_u32_e32 v5, v6, v5
	v_and_b32_e32 v6, 0x7fffff, v1
	v_or_b32_e32 v20, 0x800000, v6
	v_mad_u64_u32 v[6:7], s[4:5], v20, s4, 0
	v_mov_b32_e32 v8, v7
	s_mov_b32 s4, 0x3c439041
	v_mad_u64_u32 v[10:11], s[4:5], v20, s4, v[8:9]
	v_mov_b32_e32 v8, v11
	s_mov_b32 s4, 0xdb629599
	;; [unrolled: 3-line block ×6, first 2 shown]
	v_mad_u64_u32 v[8:9], s[4:5], v20, s4, v[8:9]
	v_cndmask_b32_e32 v7, v18, v14, vcc
	v_cndmask_b32_e32 v8, v8, v16, vcc
	;; [unrolled: 1-line block ×3, first 2 shown]
	v_cndmask_b32_e64 v11, v8, v7, s[0:1]
	v_cndmask_b32_e64 v8, v9, v8, s[0:1]
	v_cndmask_b32_e32 v9, v16, v12, vcc
	v_cndmask_b32_e64 v7, v7, v9, s[0:1]
	v_cndmask_b32_e64 v8, v8, v11, s[2:3]
	;; [unrolled: 1-line block ×3, first 2 shown]
	v_sub_u32_e32 v13, 32, v5
	v_alignbit_b32 v15, v8, v11, v13
	v_cmp_eq_u32_e64 s[4:5], 0, v5
	v_cndmask_b32_e32 v6, v12, v6, vcc
	s_nop 0
	v_cndmask_b32_e64 v5, v15, v8, s[4:5]
	v_cndmask_b32_e32 v8, v14, v10, vcc
	v_cndmask_b32_e64 v9, v9, v8, s[0:1]
	v_cndmask_b32_e64 v7, v7, v9, s[2:3]
	v_alignbit_b32 v10, v11, v7, v13
	v_cndmask_b32_e64 v10, v10, v11, s[4:5]
	v_bfe_u32 v15, v5, 29, 1
	v_cndmask_b32_e64 v6, v8, v6, s[0:1]
	v_alignbit_b32 v11, v5, v10, 30
	v_sub_u32_e32 v16, 0, v15
	v_cndmask_b32_e64 v6, v9, v6, s[2:3]
	v_xor_b32_e32 v11, v11, v16
	v_alignbit_b32 v8, v7, v6, v13
	v_cndmask_b32_e64 v7, v8, v7, s[4:5]
	v_ffbh_u32_e32 v9, v11
	v_alignbit_b32 v8, v10, v7, 30
	v_min_u32_e32 v9, 32, v9
	v_alignbit_b32 v6, v7, v6, 30
	v_xor_b32_e32 v8, v8, v16
	v_sub_u32_e32 v10, 31, v9
	v_xor_b32_e32 v6, v6, v16
	v_alignbit_b32 v11, v11, v8, v10
	v_alignbit_b32 v6, v8, v6, v10
	v_alignbit_b32 v7, v11, v6, 9
	v_ffbh_u32_e32 v8, v7
	v_min_u32_e32 v8, 32, v8
	v_lshrrev_b32_e32 v14, 29, v5
	v_not_b32_e32 v10, v8
	v_alignbit_b32 v6, v7, v6, v10
	v_lshlrev_b32_e32 v7, 31, v14
	v_or_b32_e32 v10, 0x33000000, v7
	v_add_lshl_u32 v8, v8, v9, 23
	v_lshrrev_b32_e32 v6, 9, v6
	v_sub_u32_e32 v8, v10, v8
	v_or_b32_e32 v7, 0.5, v7
	v_lshlrev_b32_e32 v9, 23, v9
	v_or_b32_e32 v6, v8, v6
	v_lshrrev_b32_e32 v8, 9, v11
	v_sub_u32_e32 v7, v7, v9
	v_or_b32_e32 v7, v8, v7
	s_mov_b32 s0, 0x3fc90fda
	v_mul_f32_e32 v8, 0x3fc90fda, v7
	v_fma_f32 v9, v7, s0, -v8
	v_fmamk_f32 v7, v7, 0x33a22168, v9
	v_fmac_f32_e32 v7, 0x3fc90fda, v6
	v_lshrrev_b32_e32 v5, 30, v5
	v_add_f32_e32 v7, v8, v7
	v_add_u32_e32 v6, v15, v5
	s_andn2_saveexec_b64 s[0:1], s[10:11]
	s_cbranch_execnz .LBB20_124
	s_branch .LBB20_125
.LBB20_123:
	s_andn2_saveexec_b64 s[0:1], s[10:11]
	s_cbranch_execz .LBB20_125
.LBB20_124:
	s_mov_b32 s2, 0x3f22f983
	v_mul_f32_e64 v5, |v0|, s2
	v_rndne_f32_e32 v5, v5
	s_mov_b32 s2, 0xbfc90fda
	v_cvt_i32_f32_e32 v6, v5
	v_fma_f32 v7, v5, s2, |v0|
	v_fmamk_f32 v7, v5, 0xb3a22168, v7
	v_fmamk_f32 v7, v5, 0xa7c234c4, v7
.LBB20_125:
	s_or_b64 exec, exec, s[0:1]
	s_mov_b32 s2, 0x40a00000
	v_div_scale_f32 v5, s[0:1], v2, v2, s2
	v_rcp_f32_e32 v8, v5
	v_div_scale_f32 v9, vcc, s2, v2, s2
	v_mov_b32_e32 v12, 0x42947983
	v_fma_f32 v10, -v5, v8, 1.0
	v_fmac_f32_e32 v8, v10, v8
	v_mul_f32_e32 v10, v9, v8
	v_fma_f32 v11, -v5, v10, v9
	v_fmac_f32_e32 v10, v11, v8
	v_fma_f32 v5, -v5, v10, v9
	v_div_fmas_f32 v5, v5, v8, v10
	v_div_fixup_f32 v5, v5, v2, s2
	v_mul_f32_e32 v8, v5, v5
	v_mov_b32_e32 v9, 0x3a47c962
	v_mov_b32_e32 v10, 0x3a15c4d9
	v_fmac_f32_e32 v9, 0, v8
	v_fmac_f32_e32 v10, 0, v8
	v_fmaak_f32 v9, v8, v9, 0x3d95ca45
	v_fmaak_f32 v10, v8, v10, 0x3d8cfeeb
	;; [unrolled: 1-line block ×8, first 2 shown]
	v_mov_b32_e32 v11, 0x3d513fd3
	v_fmaak_f32 v9, v8, v9, 0x40a6dd51
	v_fmaak_f32 v10, v8, v10, 0x40a6b6ea
	v_fmac_f32_e32 v11, 0, v8
	v_fma_f32 v10, v8, v10, 1.0
	v_fmaak_f32 v11, v8, v11, 0x409f6dae
	v_fmac_f32_e32 v12, 0, v8
	v_fma_f32 v9, v8, v9, 1.0
	v_fmaak_f32 v11, v8, v11, 0x4297a5cd
	v_fmaak_f32 v12, v8, v12, 0x44840e5d
	v_div_scale_f32 v13, s[0:1], v10, v10, v9
	v_fmaak_f32 v11, v8, v11, 0x43b763ca
	v_fmaak_f32 v12, v8, v12, 0x459bd349
	v_rcp_f32_e32 v14, v13
	v_fmaak_f32 v11, v8, v11, 0x4431b6ce
	v_fmaak_f32 v12, v8, v12, 0x46156947
	;; [unrolled: 1-line block ×8, first 2 shown]
	v_fma_f32 v12, -v13, v14, 1.0
	v_fmac_f32_e32 v14, v12, v14
	v_div_scale_f32 v12, vcc, v9, v10, v9
	v_mul_f32_e32 v15, v12, v14
	v_fma_f32 v16, -v13, v15, v12
	v_fmac_f32_e32 v15, v16, v14
	v_fma_f32 v12, -v13, v15, v12
	v_div_fmas_f32 v12, v12, v14, v15
	v_div_fixup_f32 v9, v12, v10, v9
	v_mul_f32_e32 v10, v4, v4
	v_mov_b32_e32 v12, 0x3c0881c4
	v_fmamk_f32 v13, v10, 0xb94c1982, v12
	v_fmaak_f32 v13, v10, v13, 0xbe2aaa9d
	v_mul_f32_e32 v13, v10, v13
	v_fmac_f32_e32 v4, v4, v13
	v_mov_b32_e32 v13, 0xbab64f3b
	v_fmamk_f32 v15, v10, 0x37d75334, v13
	v_fmaak_f32 v15, v10, v15, 0x3d2aabf7
	v_fmaak_f32 v15, v10, v15, 0xbf000004
	v_fma_f32 v10, v10, v15, 1.0
	v_and_b32_e32 v15, 1, v3
	v_lshlrev_b32_e32 v3, 30, v3
	v_cmp_eq_u32_e32 vcc, 0, v15
	v_and_b32_e32 v3, 0x80000000, v3
	v_xor_b32_e32 v1, v1, v0
	v_cndmask_b32_e32 v4, v10, v4, vcc
	v_xor_b32_e32 v1, v1, v3
	v_div_scale_f32 v3, s[0:1], v8, v8, v11
	v_xor_b32_e32 v1, v1, v4
	v_rcp_f32_e32 v4, v3
	s_movk_i32 s3, 0x1f8
	v_mov_b32_e32 v10, 0x7fc00000
	v_cmp_class_f32_e64 s[0:1], v0, s3
	v_mov_b32_e32 v14, 0xbe2aaa9d
	v_mov_b32_e32 v16, 0x3d2aabf7
	v_cndmask_b32_e64 v0, v10, v1, s[0:1]
	v_fma_f32 v1, -v3, v4, 1.0
	v_fmac_f32_e32 v4, v1, v4
	v_div_scale_f32 v1, vcc, v11, v8, v11
	v_mul_f32_e32 v15, v1, v4
	v_fma_f32 v18, -v3, v15, v1
	v_fmac_f32_e32 v15, v18, v4
	v_fma_f32 v1, -v3, v15, v1
	v_mul_f32_e32 v3, v7, v7
	v_fmac_f32_e32 v12, 0xb94c1982, v3
	v_fmac_f32_e32 v14, v3, v12
	;; [unrolled: 1-line block ×3, first 2 shown]
	v_mov_b32_e32 v17, 0xbf000004
	v_div_fmas_f32 v1, v1, v4, v15
	v_mul_f32_e32 v4, v3, v14
	v_fmac_f32_e32 v16, v3, v13
	v_fmac_f32_e32 v7, v7, v4
	;; [unrolled: 1-line block ×3, first 2 shown]
	v_and_b32_e32 v4, 1, v6
	v_fma_f32 v3, v3, v17, 1.0
	v_cmp_eq_u32_e32 vcc, 0, v4
	s_brev_b32 s2, 1
	v_lshlrev_b32_e32 v4, 30, v6
	v_cndmask_b32_e64 v3, -v7, v3, vcc
	v_bitop3_b32 v3, v4, v3, s2 bitop3:0x6c
	v_cndmask_b32_e64 v3, v10, v3, s[0:1]
	s_mov_b32 s0, 0xf800000
	v_mul_f32_e32 v4, 0x4f800000, v2
	v_cmp_gt_f32_e32 vcc, s0, v2
	v_div_fixup_f32 v1, v1, v8, v11
	v_mul_f32_e32 v1, v5, v1
	v_cndmask_b32_e32 v2, v2, v4, vcc
	v_sqrt_f32_e32 v4, v2
	v_mul_f32_e32 v1, v1, v3
	v_fmac_f32_e32 v1, v9, v0
	v_mul_f32_e32 v0, 0x3f4c422a, v1
	v_add_u32_e32 v1, -1, v4
	v_fma_f32 v3, -v1, v4, v2
	v_cmp_ge_f32_e64 s[0:1], 0, v3
	v_add_u32_e32 v3, 1, v4
	s_nop 0
	v_cndmask_b32_e64 v1, v4, v1, s[0:1]
	v_fma_f32 v4, -v3, v4, v2
	v_cmp_lt_f32_e64 s[0:1], 0, v4
	s_nop 1
	v_cndmask_b32_e64 v1, v1, v3, s[0:1]
	v_mul_f32_e32 v3, 0x37800000, v1
	v_cndmask_b32_e32 v1, v1, v3, vcc
	v_mov_b32_e32 v3, 0x260
	v_cmp_class_f32_e32 vcc, v2, v3
	s_nop 1
	v_cndmask_b32_e32 v1, v1, v2, vcc
	v_div_scale_f32 v2, s[0:1], v1, v1, v0
	v_rcp_f32_e32 v3, v2
	s_nop 0
	v_fma_f32 v4, -v2, v3, 1.0
	v_fmac_f32_e32 v3, v4, v3
	v_div_scale_f32 v4, vcc, v0, v1, v0
	v_mul_f32_e32 v5, v4, v3
	v_fma_f32 v6, -v2, v5, v4
	v_fmac_f32_e32 v5, v6, v3
	v_fma_f32 v2, -v2, v5, v4
	v_div_fmas_f32 v2, v2, v3, v5
	v_div_fixup_f32 v0, v2, v1, v0
.LBB20_126:
	s_or_b64 exec, exec, s[8:9]
	s_or_b64 exec, exec, s[6:7]
	s_setpc_b64 s[30:31]
.LBB20_127:
	s_or_saveexec_b64 s[16:17], s[16:17]
	v_mov_b32_e32 v2, 0x7f800001
	s_xor_b64 exec, exec, s[16:17]
	s_cbranch_execz .LBB20_30
.LBB20_128:
	v_cmp_ne_u16_e32 vcc, 0, v3
	s_andn2_b64 s[14:15], s[14:15], exec
	s_and_b64 s[18:19], vcc, exec
	v_mov_b32_e32 v2, 0
	s_or_b64 s[14:15], s[14:15], s[18:19]
	s_or_b64 exec, exec, s[16:17]
	s_and_saveexec_b64 s[16:17], s[14:15]
	s_cbranch_execnz .LBB20_31
	s_branch .LBB20_32
.LBB20_129:
	s_or_saveexec_b64 s[16:17], s[16:17]
	v_mov_b32_e32 v2, 0x7f800001
	s_xor_b64 exec, exec, s[16:17]
	s_cbranch_execz .LBB20_100
.LBB20_130:
	v_cmp_ne_u16_e32 vcc, 0, v3
	s_andn2_b64 s[14:15], s[14:15], exec
	s_and_b64 s[18:19], vcc, exec
	v_mov_b32_e32 v2, 0
	s_or_b64 s[14:15], s[14:15], s[18:19]
	s_or_b64 exec, exec, s[16:17]
	s_and_saveexec_b64 s[16:17], s[14:15]
	s_cbranch_execnz .LBB20_101
	s_branch .LBB20_102
.Lfunc_end20:
	.size	_ZN2at6native6invokeIZZZNS0_12_GLOBAL__N_121bessel_y1_kernel_cudaERNS_18TensorIteratorBaseEENKUlvE_clEvENKUlvE0_clEvEUlfE_i15function_traitsIS7_EEENT1_11result_typeERKT_PrKPcPKT0_PKN3c1010ScalarTypeEi, .Lfunc_end20-_ZN2at6native6invokeIZZZNS0_12_GLOBAL__N_121bessel_y1_kernel_cudaERNS_18TensorIteratorBaseEENKUlvE_clEvENKUlvE0_clEvEUlfE_i15function_traitsIS7_EEENT1_11result_typeERKT_PrKPcPKT0_PKN3c1010ScalarTypeEi
                                        ; -- End function
	.set .L_ZN2at6native6invokeIZZZNS0_12_GLOBAL__N_121bessel_y1_kernel_cudaERNS_18TensorIteratorBaseEENKUlvE_clEvENKUlvE0_clEvEUlfE_i15function_traitsIS7_EEENT1_11result_typeERKT_PrKPcPKT0_PKN3c1010ScalarTypeEi.num_vgpr, 21
	.set .L_ZN2at6native6invokeIZZZNS0_12_GLOBAL__N_121bessel_y1_kernel_cudaERNS_18TensorIteratorBaseEENKUlvE_clEvENKUlvE0_clEvEUlfE_i15function_traitsIS7_EEENT1_11result_typeERKT_PrKPcPKT0_PKN3c1010ScalarTypeEi.num_agpr, 0
	.set .L_ZN2at6native6invokeIZZZNS0_12_GLOBAL__N_121bessel_y1_kernel_cudaERNS_18TensorIteratorBaseEENKUlvE_clEvENKUlvE0_clEvEUlfE_i15function_traitsIS7_EEENT1_11result_typeERKT_PrKPcPKT0_PKN3c1010ScalarTypeEi.numbered_sgpr, 32
	.set .L_ZN2at6native6invokeIZZZNS0_12_GLOBAL__N_121bessel_y1_kernel_cudaERNS_18TensorIteratorBaseEENKUlvE_clEvENKUlvE0_clEvEUlfE_i15function_traitsIS7_EEENT1_11result_typeERKT_PrKPcPKT0_PKN3c1010ScalarTypeEi.num_named_barrier, 0
	.set .L_ZN2at6native6invokeIZZZNS0_12_GLOBAL__N_121bessel_y1_kernel_cudaERNS_18TensorIteratorBaseEENKUlvE_clEvENKUlvE0_clEvEUlfE_i15function_traitsIS7_EEENT1_11result_typeERKT_PrKPcPKT0_PKN3c1010ScalarTypeEi.private_seg_size, 0
	.set .L_ZN2at6native6invokeIZZZNS0_12_GLOBAL__N_121bessel_y1_kernel_cudaERNS_18TensorIteratorBaseEENKUlvE_clEvENKUlvE0_clEvEUlfE_i15function_traitsIS7_EEENT1_11result_typeERKT_PrKPcPKT0_PKN3c1010ScalarTypeEi.uses_vcc, 1
	.set .L_ZN2at6native6invokeIZZZNS0_12_GLOBAL__N_121bessel_y1_kernel_cudaERNS_18TensorIteratorBaseEENKUlvE_clEvENKUlvE0_clEvEUlfE_i15function_traitsIS7_EEENT1_11result_typeERKT_PrKPcPKT0_PKN3c1010ScalarTypeEi.uses_flat_scratch, 0
	.set .L_ZN2at6native6invokeIZZZNS0_12_GLOBAL__N_121bessel_y1_kernel_cudaERNS_18TensorIteratorBaseEENKUlvE_clEvENKUlvE0_clEvEUlfE_i15function_traitsIS7_EEENT1_11result_typeERKT_PrKPcPKT0_PKN3c1010ScalarTypeEi.has_dyn_sized_stack, 0
	.set .L_ZN2at6native6invokeIZZZNS0_12_GLOBAL__N_121bessel_y1_kernel_cudaERNS_18TensorIteratorBaseEENKUlvE_clEvENKUlvE0_clEvEUlfE_i15function_traitsIS7_EEENT1_11result_typeERKT_PrKPcPKT0_PKN3c1010ScalarTypeEi.has_recursion, 0
	.set .L_ZN2at6native6invokeIZZZNS0_12_GLOBAL__N_121bessel_y1_kernel_cudaERNS_18TensorIteratorBaseEENKUlvE_clEvENKUlvE0_clEvEUlfE_i15function_traitsIS7_EEENT1_11result_typeERKT_PrKPcPKT0_PKN3c1010ScalarTypeEi.has_indirect_call, 0
	.section	.AMDGPU.csdata,"",@progbits
; Function info:
; codeLenInByte = 5620
; TotalNumSgprs: 38
; NumVgprs: 21
; NumAgprs: 0
; TotalNumVgprs: 21
; ScratchSize: 0
; MemoryBound: 1
	.section	.text._ZN2at6native32elementwise_kernel_manual_unrollILi128ELi4EZNS0_15gpu_kernel_implIZZZNS0_12_GLOBAL__N_121bessel_y1_kernel_cudaERNS_18TensorIteratorBaseEENKUlvE_clEvENKUlvE0_clEvEUlfE_EEvS5_RKT_EUlibE_EEviT1_,"axG",@progbits,_ZN2at6native32elementwise_kernel_manual_unrollILi128ELi4EZNS0_15gpu_kernel_implIZZZNS0_12_GLOBAL__N_121bessel_y1_kernel_cudaERNS_18TensorIteratorBaseEENKUlvE_clEvENKUlvE0_clEvEUlfE_EEvS5_RKT_EUlibE_EEviT1_,comdat
	.globl	_ZN2at6native32elementwise_kernel_manual_unrollILi128ELi4EZNS0_15gpu_kernel_implIZZZNS0_12_GLOBAL__N_121bessel_y1_kernel_cudaERNS_18TensorIteratorBaseEENKUlvE_clEvENKUlvE0_clEvEUlfE_EEvS5_RKT_EUlibE_EEviT1_ ; -- Begin function _ZN2at6native32elementwise_kernel_manual_unrollILi128ELi4EZNS0_15gpu_kernel_implIZZZNS0_12_GLOBAL__N_121bessel_y1_kernel_cudaERNS_18TensorIteratorBaseEENKUlvE_clEvENKUlvE0_clEvEUlfE_EEvS5_RKT_EUlibE_EEviT1_
	.p2align	8
	.type	_ZN2at6native32elementwise_kernel_manual_unrollILi128ELi4EZNS0_15gpu_kernel_implIZZZNS0_12_GLOBAL__N_121bessel_y1_kernel_cudaERNS_18TensorIteratorBaseEENKUlvE_clEvENKUlvE0_clEvEUlfE_EEvS5_RKT_EUlibE_EEviT1_,@function
_ZN2at6native32elementwise_kernel_manual_unrollILi128ELi4EZNS0_15gpu_kernel_implIZZZNS0_12_GLOBAL__N_121bessel_y1_kernel_cudaERNS_18TensorIteratorBaseEENKUlvE_clEvENKUlvE0_clEvEUlfE_EEvS5_RKT_EUlibE_EEviT1_: ; @_ZN2at6native32elementwise_kernel_manual_unrollILi128ELi4EZNS0_15gpu_kernel_implIZZZNS0_12_GLOBAL__N_121bessel_y1_kernel_cudaERNS_18TensorIteratorBaseEENKUlvE_clEvENKUlvE0_clEvEUlfE_EEvS5_RKT_EUlibE_EEviT1_
; %bb.0:
	v_mov_b32_e32 v1, 0
	global_load_ushort v1, v1, s[0:1] offset:33
	s_load_dword s50, s[0:1], 0x0
	s_load_dwordx2 s[28:29], s[0:1], 0x18
	s_load_dwordx4 s[24:27], s[0:1], 0x8
	v_lshl_or_b32 v21, s2, 9, v0
	v_mov_b32_e32 v2, 8
	v_or_b32_e32 v25, 0x180, v21
	s_mov_b64 s[34:35], 0
	s_waitcnt lgkmcnt(0)
	v_cmp_le_i32_e32 vcc, s50, v25
	s_mov_b64 s[38:39], 0
	s_mov_b32 s32, 0
	s_waitcnt vmcnt(0)
	v_readfirstlane_b32 s33, v1
	v_lshrrev_b32_sdwa v23, v2, v1 dst_sel:DWORD dst_unused:UNUSED_PAD src0_sel:DWORD src1_sel:WORD_0
	s_and_saveexec_b64 s[0:1], vcc
	s_xor_b64 s[36:37], exec, s[0:1]
	s_cbranch_execz .LBB21_508
; %bb.1:
	v_cmp_gt_i32_e32 vcc, s50, v21
	s_mov_b64 s[0:1], -1
	s_mov_b64 s[44:45], 0
	s_and_saveexec_b64 s[40:41], vcc
	s_cbranch_execz .LBB21_124
; %bb.2:
	s_getpc_b64 s[0:1]
	s_add_u32 s0, s0, _ZN2at6native6invokeIZZZNS0_12_GLOBAL__N_121bessel_y1_kernel_cudaERNS_18TensorIteratorBaseEENKUlvE_clEvENKUlvE0_clEvEUlfE_i15function_traitsIS7_EEENT1_11result_typeERKT_PrKPcPKT0_PKN3c1010ScalarTypeEi@rel32@lo+4
	s_addc_u32 s1, s1, _ZN2at6native6invokeIZZZNS0_12_GLOBAL__N_121bessel_y1_kernel_cudaERNS_18TensorIteratorBaseEENKUlvE_clEvENKUlvE0_clEvEUlfE_i15function_traitsIS7_EEENT1_11result_typeERKT_PrKPcPKT0_PKN3c1010ScalarTypeEi@rel32@hi+12
	v_mov_b32_e32 v0, s26
	v_mov_b32_e32 v1, s27
	;; [unrolled: 1-line block ×5, first 2 shown]
	s_swappc_b64 s[30:31], s[0:1]
	v_mul_lo_u32 v2, v21, s28
	v_ashrrev_i32_e32 v3, 31, v2
	s_and_b32 s8, s33, 0xff
	s_cmp_lt_i32 s8, 11
	v_lshl_add_u64 v[2:3], s[24:25], 0, v[2:3]
	s_cbranch_scc1 .LBB21_9
; %bb.3:
	s_and_b32 s9, 0xffff, s8
	s_cmp_gt_i32 s9, 25
	s_cbranch_scc0 .LBB21_12
; %bb.4:
	s_cmp_gt_i32 s9, 28
	s_cbranch_scc0 .LBB21_13
; %bb.5:
	;; [unrolled: 3-line block ×4, first 2 shown]
	s_mov_b64 s[4:5], 0
	s_mov_b64 s[0:1], -1
	s_cmp_eq_u32 s9, 46
	s_mov_b64 s[2:3], 0
	s_cbranch_scc0 .LBB21_16
; %bb.8:
	v_bfe_u32 v1, v0, 16, 1
	s_movk_i32 s0, 0x7fff
	v_add3_u32 v1, v0, v1, s0
	v_cmp_o_f32_e32 vcc, v0, v0
	v_mov_b32_e32 v4, 0x7fc0
	s_mov_b64 s[2:3], -1
	v_cndmask_b32_sdwa v1, v4, v1, vcc dst_sel:DWORD dst_unused:UNUSED_PAD src0_sel:DWORD src1_sel:WORD_1
	global_store_dword v[2:3], v1, off
	s_mov_b64 s[0:1], 0
	s_branch .LBB21_16
.LBB21_9:
	s_mov_b64 s[0:1], 0
	s_mov_b64 s[2:3], 0
	s_cbranch_execnz .LBB21_84
.LBB21_10:
	s_andn2_b64 vcc, exec, s[2:3]
	s_cbranch_vccnz .LBB21_122
.LBB21_11:
	v_add_u32_e32 v21, 0x80, v21
	s_mov_b64 s[2:3], -1
	s_branch .LBB21_123
.LBB21_12:
	s_mov_b64 s[0:1], 0
	s_mov_b64 s[2:3], 0
	s_cbranch_execnz .LBB21_43
	s_branch .LBB21_83
.LBB21_13:
	s_mov_b64 s[4:5], -1
	s_mov_b64 s[0:1], 0
	s_mov_b64 s[2:3], 0
	s_branch .LBB21_26
.LBB21_14:
	s_mov_b64 s[4:5], -1
	s_mov_b64 s[0:1], 0
	s_mov_b64 s[2:3], 0
	s_branch .LBB21_22
.LBB21_15:
	s_mov_b64 s[4:5], -1
	s_mov_b64 s[0:1], 0
	s_mov_b64 s[2:3], 0
.LBB21_16:
	s_and_b64 vcc, exec, s[4:5]
	s_cbranch_vccz .LBB21_21
; %bb.17:
	s_cmp_eq_u32 s9, 44
	s_mov_b64 s[0:1], -1
	s_cbranch_scc0 .LBB21_21
; %bb.18:
	v_bfe_u32 v1, v0, 23, 8
	s_movk_i32 s0, 0xff
	v_cmp_ne_u32_e32 vcc, s0, v1
	v_mov_b32_e32 v4, 0xff
	s_and_saveexec_b64 s[2:3], vcc
; %bb.19:
	s_mov_b32 s0, 0x3fffff
	v_and_b32_e32 v5, 0x400000, v0
	v_and_or_b32 v1, v0, s0, v1
	v_cmp_ne_u32_e32 vcc, 0, v5
	v_cmp_ne_u32_e64 s[0:1], 0, v1
	s_and_b64 s[0:1], vcc, s[0:1]
	v_lshrrev_b32_e32 v4, 23, v0
	v_cndmask_b32_e64 v1, 0, 1, s[0:1]
	v_add_u32_e32 v4, v4, v1
; %bb.20:
	s_or_b64 exec, exec, s[2:3]
	s_mov_b64 s[2:3], -1
	s_mov_b64 s[0:1], 0
	global_store_byte v[2:3], v4, off
.LBB21_21:
	s_mov_b64 s[4:5], 0
.LBB21_22:
	s_and_b64 vcc, exec, s[4:5]
	s_cbranch_vccz .LBB21_25
; %bb.23:
	s_cmp_eq_u32 s9, 29
	s_mov_b64 s[0:1], -1
	s_cbranch_scc0 .LBB21_25
; %bb.24:
	v_trunc_f32_e32 v1, v0
	v_mul_f32_e32 v4, 0x2f800000, v1
	v_floor_f32_e32 v4, v4
	v_fmamk_f32 v1, v4, 0xcf800000, v1
	v_cvt_u32_f32_e32 v5, v4
	v_cvt_u32_f32_e32 v4, v1
	s_mov_b64 s[2:3], -1
	s_mov_b64 s[0:1], 0
	s_mov_b64 s[4:5], 0
	global_store_dwordx2 v[2:3], v[4:5], off
	s_branch .LBB21_26
.LBB21_25:
	s_mov_b64 s[4:5], 0
.LBB21_26:
	s_and_b64 vcc, exec, s[4:5]
	s_cbranch_vccz .LBB21_42
; %bb.27:
	s_cmp_lt_i32 s9, 27
	s_mov_b64 s[2:3], -1
	s_cbranch_scc1 .LBB21_33
; %bb.28:
	v_cvt_u32_f32_e32 v1, v0
	s_cmp_gt_i32 s9, 27
	s_cbranch_scc0 .LBB21_30
; %bb.29:
	s_mov_b64 s[2:3], 0
	global_store_dword v[2:3], v1, off
.LBB21_30:
	s_andn2_b64 vcc, exec, s[2:3]
	s_cbranch_vccnz .LBB21_32
; %bb.31:
	global_store_short v[2:3], v1, off
.LBB21_32:
	s_mov_b64 s[2:3], 0
.LBB21_33:
	s_andn2_b64 vcc, exec, s[2:3]
	s_cbranch_vccnz .LBB21_41
; %bb.34:
	v_and_b32_e32 v1, 0x7fffffff, v0
	s_mov_b32 s2, 0x43800000
	v_cmp_gt_u32_e32 vcc, s2, v1
	v_mov_b32_e32 v4, 0x80
	s_and_saveexec_b64 s[2:3], vcc
	s_cbranch_execz .LBB21_40
; %bb.35:
	s_mov_b32 s4, 0x3bffffff
	v_cmp_lt_u32_e32 vcc, s4, v1
	s_mov_b64 s[4:5], 0
                                        ; implicit-def: $vgpr1
	s_and_saveexec_b64 s[6:7], vcc
	s_xor_b64 s[6:7], exec, s[6:7]
	s_cbranch_execz .LBB21_141
; %bb.36:
	v_bfe_u32 v1, v0, 20, 1
	s_mov_b32 s10, 0x487ffff
	v_add3_u32 v1, v0, v1, s10
	s_mov_b64 s[4:5], exec
	v_lshrrev_b32_e32 v1, 20, v1
	s_andn2_saveexec_b64 s[6:7], s[6:7]
	s_cbranch_execnz .LBB21_142
.LBB21_37:
	s_or_b64 exec, exec, s[6:7]
	v_mov_b32_e32 v4, 0
	s_and_saveexec_b64 s[6:7], s[4:5]
.LBB21_38:
	v_lshrrev_b32_e32 v4, 24, v0
	s_movk_i32 s4, 0x80
	v_and_or_b32 v4, v4, s4, v1
.LBB21_39:
	s_or_b64 exec, exec, s[6:7]
.LBB21_40:
	s_or_b64 exec, exec, s[2:3]
	global_store_byte v[2:3], v4, off
.LBB21_41:
	s_mov_b64 s[2:3], -1
.LBB21_42:
	s_branch .LBB21_83
.LBB21_43:
	s_cmp_gt_i32 s9, 22
	s_mov_b64 s[4:5], -1
	s_cbranch_scc0 .LBB21_75
; %bb.44:
	s_cmp_lt_i32 s9, 24
	s_mov_b64 s[2:3], -1
	s_cbranch_scc1 .LBB21_64
; %bb.45:
	s_cmp_gt_i32 s9, 24
	s_cbranch_scc0 .LBB21_53
; %bb.46:
	v_and_b32_e32 v1, 0x7fffffff, v0
	s_mov_b32 s2, 0x47800000
	v_cmp_gt_u32_e32 vcc, s2, v1
	v_mov_b32_e32 v4, 0x80
	s_and_saveexec_b64 s[2:3], vcc
	s_cbranch_execz .LBB21_52
; %bb.47:
	s_mov_b32 s4, 0x37ffffff
	v_cmp_lt_u32_e32 vcc, s4, v1
	s_mov_b64 s[4:5], 0
                                        ; implicit-def: $vgpr1
	s_and_saveexec_b64 s[6:7], vcc
	s_xor_b64 s[6:7], exec, s[6:7]
	s_cbranch_execz .LBB21_144
; %bb.48:
	v_bfe_u32 v1, v0, 21, 1
	s_mov_b32 s10, 0x88fffff
	v_add3_u32 v1, v0, v1, s10
	s_mov_b64 s[4:5], exec
	v_lshrrev_b32_e32 v1, 21, v1
	s_andn2_saveexec_b64 s[6:7], s[6:7]
	s_cbranch_execnz .LBB21_145
.LBB21_49:
	s_or_b64 exec, exec, s[6:7]
	v_mov_b32_e32 v4, 0
	s_and_saveexec_b64 s[6:7], s[4:5]
.LBB21_50:
	v_lshrrev_b32_e32 v4, 24, v0
	s_movk_i32 s4, 0x80
	v_and_or_b32 v4, v4, s4, v1
.LBB21_51:
	s_or_b64 exec, exec, s[6:7]
.LBB21_52:
	s_or_b64 exec, exec, s[2:3]
	s_mov_b64 s[2:3], 0
	global_store_byte v[2:3], v4, off
.LBB21_53:
	s_and_b64 vcc, exec, s[2:3]
	s_cbranch_vccz .LBB21_63
; %bb.54:
	v_and_b32_e32 v4, 0x7fffffff, v0
	s_mov_b32 s2, 0x43f00000
	v_cmp_gt_u32_e32 vcc, s2, v4
                                        ; implicit-def: $vgpr1
	s_and_saveexec_b64 s[2:3], vcc
	s_xor_b64 s[2:3], exec, s[2:3]
	s_cbranch_execz .LBB21_60
; %bb.55:
	s_mov_b32 s4, 0x3c7fffff
	v_cmp_lt_u32_e32 vcc, s4, v4
                                        ; implicit-def: $vgpr1
	s_and_saveexec_b64 s[4:5], vcc
	s_xor_b64 s[4:5], exec, s[4:5]
; %bb.56:
	v_bfe_u32 v1, v0, 20, 1
	s_mov_b32 s6, 0x407ffff
	v_add3_u32 v1, v0, v1, s6
	v_lshrrev_b32_e32 v4, 20, v1
	v_and_b32_e32 v1, 0xff00000, v1
	s_mov_b32 s6, 0x7f00000
	v_mov_b32_e32 v5, 0x7e
	v_cmp_ne_u32_e32 vcc, s6, v1
	s_nop 1
	v_cndmask_b32_e32 v1, v5, v4, vcc
; %bb.57:
	s_andn2_saveexec_b64 s[4:5], s[4:5]
; %bb.58:
	s_mov_b32 s6, 0x46800000
	v_add_f32_e64 v1, |v0|, s6
; %bb.59:
	s_or_b64 exec, exec, s[4:5]
                                        ; implicit-def: $vgpr4
.LBB21_60:
	s_andn2_saveexec_b64 s[2:3], s[2:3]
; %bb.61:
	s_mov_b32 s4, 0x7f800000
	v_mov_b32_e32 v1, 0x7e
	v_mov_b32_e32 v5, 0x7f
	v_cmp_lt_u32_e32 vcc, s4, v4
	s_nop 1
	v_cndmask_b32_e32 v1, v1, v5, vcc
; %bb.62:
	s_or_b64 exec, exec, s[2:3]
	v_lshrrev_b32_e32 v4, 24, v0
	s_movk_i32 s2, 0x80
	v_and_or_b32 v1, v4, s2, v1
	global_store_byte v[2:3], v1, off
.LBB21_63:
	s_mov_b64 s[2:3], 0
.LBB21_64:
	s_andn2_b64 vcc, exec, s[2:3]
	s_cbranch_vccnz .LBB21_74
; %bb.65:
	v_and_b32_e32 v4, 0x7fffffff, v0
	s_mov_b32 s2, 0x47800000
	v_cmp_gt_u32_e32 vcc, s2, v4
                                        ; implicit-def: $vgpr1
	s_and_saveexec_b64 s[2:3], vcc
	s_xor_b64 s[2:3], exec, s[2:3]
	s_cbranch_execz .LBB21_71
; %bb.66:
	s_mov_b32 s4, 0x387fffff
	v_cmp_lt_u32_e32 vcc, s4, v4
                                        ; implicit-def: $vgpr1
	s_and_saveexec_b64 s[4:5], vcc
	s_xor_b64 s[4:5], exec, s[4:5]
; %bb.67:
	v_bfe_u32 v1, v0, 21, 1
	s_mov_b32 s6, 0x80fffff
	v_add3_u32 v1, v0, v1, s6
	v_lshrrev_b32_e32 v1, 21, v1
; %bb.68:
	s_andn2_saveexec_b64 s[4:5], s[4:5]
; %bb.69:
	s_mov_b32 s6, 0x43000000
	v_add_f32_e64 v1, |v0|, s6
; %bb.70:
	s_or_b64 exec, exec, s[4:5]
                                        ; implicit-def: $vgpr4
.LBB21_71:
	s_andn2_saveexec_b64 s[2:3], s[2:3]
; %bb.72:
	s_mov_b32 s4, 0x7f800000
	v_mov_b32_e32 v1, 0x7c
	v_mov_b32_e32 v5, 0x7f
	v_cmp_lt_u32_e32 vcc, s4, v4
	s_nop 1
	v_cndmask_b32_e32 v1, v1, v5, vcc
; %bb.73:
	s_or_b64 exec, exec, s[2:3]
	v_lshrrev_b32_e32 v4, 24, v0
	s_movk_i32 s2, 0x80
	v_and_or_b32 v1, v4, s2, v1
	global_store_byte v[2:3], v1, off
.LBB21_74:
	s_mov_b64 s[4:5], 0
	s_mov_b64 s[2:3], -1
.LBB21_75:
	s_andn2_b64 vcc, exec, s[4:5]
	s_cbranch_vccnz .LBB21_83
; %bb.76:
	s_cmp_gt_i32 s9, 14
	s_mov_b64 s[4:5], -1
	s_cbranch_scc0 .LBB21_80
; %bb.77:
	s_cmp_eq_u32 s9, 15
	s_mov_b64 s[0:1], -1
	s_cbranch_scc0 .LBB21_79
; %bb.78:
	v_bfe_u32 v1, v0, 16, 1
	s_movk_i32 s0, 0x7fff
	v_add3_u32 v1, v0, v1, s0
	v_cmp_o_f32_e32 vcc, v0, v0
	v_mov_b32_e32 v4, 0x7fc0
	s_mov_b64 s[2:3], -1
	v_cndmask_b32_sdwa v1, v4, v1, vcc dst_sel:DWORD dst_unused:UNUSED_PAD src0_sel:DWORD src1_sel:WORD_1
	global_store_short v[2:3], v1, off
	s_mov_b64 s[0:1], 0
.LBB21_79:
	s_mov_b64 s[4:5], 0
.LBB21_80:
	s_and_b64 vcc, exec, s[4:5]
	s_cbranch_vccz .LBB21_83
; %bb.81:
	s_cmp_eq_u32 s9, 11
	s_mov_b64 s[0:1], -1
	s_cbranch_scc0 .LBB21_83
; %bb.82:
	v_cmp_neq_f32_e32 vcc, 0, v0
	s_mov_b64 s[2:3], -1
	s_mov_b64 s[0:1], 0
	v_cndmask_b32_e64 v1, 0, 1, vcc
	global_store_byte v[2:3], v1, off
.LBB21_83:
	s_branch .LBB21_10
.LBB21_84:
	s_and_b32 s4, 0xffff, s8
	s_cmp_lt_i32 s4, 5
	s_mov_b64 s[2:3], -1
	s_cbranch_scc1 .LBB21_105
; %bb.85:
	s_cmp_lt_i32 s4, 8
	s_cbranch_scc1 .LBB21_95
; %bb.86:
	s_cmp_lt_i32 s4, 9
	s_cbranch_scc1 .LBB21_92
; %bb.87:
	s_cmp_gt_i32 s4, 9
	s_cbranch_scc0 .LBB21_89
; %bb.88:
	v_mov_b32_e32 v6, 0
	v_cvt_f64_f32_e32 v[4:5], v0
	v_mov_b32_e32 v7, v6
	global_store_dwordx4 v[2:3], v[4:7], off
	s_mov_b64 s[2:3], 0
.LBB21_89:
	s_andn2_b64 vcc, exec, s[2:3]
	s_cbranch_vccnz .LBB21_91
; %bb.90:
	v_mov_b32_e32 v1, 0
	global_store_dwordx2 v[2:3], v[0:1], off
.LBB21_91:
	s_mov_b64 s[2:3], 0
.LBB21_92:
	s_andn2_b64 vcc, exec, s[2:3]
	s_cbranch_vccnz .LBB21_94
; %bb.93:
	v_cvt_f16_f32_e32 v1, v0
	global_store_dword v[2:3], v1, off
.LBB21_94:
	s_mov_b64 s[2:3], 0
.LBB21_95:
	s_andn2_b64 vcc, exec, s[2:3]
	s_cbranch_vccnz .LBB21_104
; %bb.96:
	s_cmp_lt_i32 s4, 6
	s_mov_b64 s[2:3], -1
	s_cbranch_scc1 .LBB21_102
; %bb.97:
	s_cmp_gt_i32 s4, 6
	s_cbranch_scc0 .LBB21_99
; %bb.98:
	v_cvt_f64_f32_e32 v[4:5], v0
	global_store_dwordx2 v[2:3], v[4:5], off
	s_mov_b64 s[2:3], 0
.LBB21_99:
	s_andn2_b64 vcc, exec, s[2:3]
	s_cbranch_vccnz .LBB21_101
; %bb.100:
	global_store_dword v[2:3], v0, off
.LBB21_101:
	s_mov_b64 s[2:3], 0
.LBB21_102:
	s_andn2_b64 vcc, exec, s[2:3]
	s_cbranch_vccnz .LBB21_104
; %bb.103:
	v_cvt_f16_f32_e32 v1, v0
	global_store_short v[2:3], v1, off
.LBB21_104:
	s_mov_b64 s[2:3], 0
.LBB21_105:
	s_andn2_b64 vcc, exec, s[2:3]
	s_cbranch_vccnz .LBB21_121
; %bb.106:
	s_cmp_lt_i32 s4, 2
	s_mov_b64 s[2:3], -1
	s_cbranch_scc1 .LBB21_116
; %bb.107:
	s_cmp_lt_i32 s4, 3
	s_cbranch_scc1 .LBB21_113
; %bb.108:
	s_cmp_gt_i32 s4, 3
	s_cbranch_scc0 .LBB21_110
; %bb.109:
	v_trunc_f32_e32 v1, v0
	s_mov_b32 s2, 0x2f800000
	v_mul_f32_e64 v4, |v1|, s2
	v_floor_f32_e32 v4, v4
	s_mov_b32 s2, 0xcf800000
	v_cvt_u32_f32_e32 v5, v4
	v_fma_f32 v4, v4, s2, |v1|
	v_cvt_u32_f32_e32 v4, v4
	v_ashrrev_i32_e32 v1, 31, v1
	v_xor_b32_e32 v5, v5, v1
	s_mov_b64 s[2:3], 0
	v_xor_b32_e32 v4, v4, v1
	v_sub_co_u32_e32 v4, vcc, v4, v1
	s_nop 1
	v_subb_co_u32_e32 v5, vcc, v5, v1, vcc
	global_store_dwordx2 v[2:3], v[4:5], off
.LBB21_110:
	s_andn2_b64 vcc, exec, s[2:3]
	s_cbranch_vccnz .LBB21_112
; %bb.111:
	v_cvt_i32_f32_e32 v1, v0
	global_store_dword v[2:3], v1, off
.LBB21_112:
	s_mov_b64 s[2:3], 0
.LBB21_113:
	s_andn2_b64 vcc, exec, s[2:3]
	s_cbranch_vccnz .LBB21_115
; %bb.114:
	v_cvt_i32_f32_e32 v1, v0
	global_store_short v[2:3], v1, off
.LBB21_115:
	s_mov_b64 s[2:3], 0
.LBB21_116:
	s_andn2_b64 vcc, exec, s[2:3]
	s_cbranch_vccnz .LBB21_121
; %bb.117:
	s_cmp_gt_i32 s4, 0
	s_mov_b64 s[2:3], -1
	s_cbranch_scc0 .LBB21_119
; %bb.118:
	v_cvt_i32_f32_e32 v1, v0
	s_mov_b64 s[2:3], 0
	global_store_byte v[2:3], v1, off
.LBB21_119:
	s_andn2_b64 vcc, exec, s[2:3]
	s_cbranch_vccnz .LBB21_121
; %bb.120:
	v_trunc_f32_e32 v0, v0
	s_mov_b32 s2, 0x2f800000
	v_mul_f32_e64 v1, |v0|, s2
	v_floor_f32_e32 v1, v1
	s_mov_b32 s2, 0xcf800000
	v_fma_f32 v1, v1, s2, |v0|
	v_cvt_u32_f32_e32 v1, v1
	v_ashrrev_i32_e32 v0, 31, v0
	v_xor_b32_e32 v1, v1, v0
	v_sub_u32_e32 v0, v1, v0
	global_store_byte v[2:3], v0, off
.LBB21_121:
	s_branch .LBB21_11
.LBB21_122:
	s_mov_b64 s[2:3], 0
                                        ; implicit-def: $vgpr21
.LBB21_123:
	s_and_b64 s[38:39], s[0:1], exec
	s_orn2_b64 s[0:1], s[2:3], exec
.LBB21_124:
	s_or_b64 exec, exec, s[40:41]
	s_mov_b64 s[2:3], 0
                                        ; implicit-def: $sgpr10
                                        ; implicit-def: $vgpr2_vgpr3
                                        ; implicit-def: $vgpr0
	s_and_saveexec_b64 s[40:41], s[0:1]
	s_cbranch_execz .LBB21_133
; %bb.125:
	v_cmp_gt_i32_e32 vcc, s50, v21
	s_mov_b64 s[4:5], -1
	s_mov_b64 s[42:43], s[38:39]
	s_and_saveexec_b64 s[44:45], vcc
	s_cbranch_execz .LBB21_256
; %bb.126:
	s_getpc_b64 s[0:1]
	s_add_u32 s0, s0, _ZN2at6native6invokeIZZZNS0_12_GLOBAL__N_121bessel_y1_kernel_cudaERNS_18TensorIteratorBaseEENKUlvE_clEvENKUlvE0_clEvEUlfE_i15function_traitsIS7_EEENT1_11result_typeERKT_PrKPcPKT0_PKN3c1010ScalarTypeEi@rel32@lo+4
	s_addc_u32 s1, s1, _ZN2at6native6invokeIZZZNS0_12_GLOBAL__N_121bessel_y1_kernel_cudaERNS_18TensorIteratorBaseEENKUlvE_clEvENKUlvE0_clEvEUlfE_i15function_traitsIS7_EEENT1_11result_typeERKT_PrKPcPKT0_PKN3c1010ScalarTypeEi@rel32@hi+12
	v_mov_b32_e32 v0, s26
	v_mov_b32_e32 v1, s27
	;; [unrolled: 1-line block ×5, first 2 shown]
	s_swappc_b64 s[30:31], s[0:1]
	v_mul_lo_u32 v2, v21, s28
	v_ashrrev_i32_e32 v3, 31, v2
	s_and_b32 s8, s33, 0xff
	s_cmp_lt_i32 s8, 11
	v_lshl_add_u64 v[2:3], s[24:25], 0, v[2:3]
	s_cbranch_scc1 .LBB21_136
; %bb.127:
	s_and_b32 s9, 0xffff, s8
	s_cmp_gt_i32 s9, 25
	s_cbranch_scc0 .LBB21_139
; %bb.128:
	s_cmp_gt_i32 s9, 28
	s_cbranch_scc0 .LBB21_140
; %bb.129:
	;; [unrolled: 3-line block ×4, first 2 shown]
	s_mov_b64 s[4:5], 0
	s_mov_b64 s[0:1], -1
	s_cmp_eq_u32 s9, 46
	s_mov_b64 s[2:3], 0
	s_cbranch_scc0 .LBB21_147
; %bb.132:
	v_bfe_u32 v1, v0, 16, 1
	s_movk_i32 s0, 0x7fff
	v_add3_u32 v1, v0, v1, s0
	v_cmp_o_f32_e32 vcc, v0, v0
	v_mov_b32_e32 v4, 0x7fc0
	s_mov_b64 s[2:3], -1
	v_cndmask_b32_sdwa v1, v4, v1, vcc dst_sel:DWORD dst_unused:UNUSED_PAD src0_sel:DWORD src1_sel:WORD_1
	global_store_dword v[2:3], v1, off
	s_mov_b64 s[0:1], 0
	s_branch .LBB21_147
.LBB21_133:
	s_or_b64 exec, exec, s[40:41]
	s_mov_b64 s[0:1], 0
	s_and_saveexec_b64 s[4:5], s[38:39]
	s_cbranch_execnz .LBB21_468
.LBB21_134:
	s_or_b64 exec, exec, s[4:5]
	s_and_saveexec_b64 s[4:5], s[44:45]
	s_xor_b64 s[4:5], exec, s[4:5]
	s_cbranch_execz .LBB21_469
.LBB21_135:
	v_cmp_neq_f32_e32 vcc, 0, v0
	s_nop 1
	v_cndmask_b32_e64 v1, 0, 1, vcc
	global_store_byte v[2:3], v1, off
	s_or_b64 exec, exec, s[4:5]
	s_and_saveexec_b64 s[4:5], s[2:3]
	s_xor_b64 s[2:3], exec, s[4:5]
	s_cbranch_execz .LBB21_507
	s_branch .LBB21_470
.LBB21_136:
	s_mov_b64 s[2:3], 0
	s_mov_b64 s[0:1], s[38:39]
	s_cbranch_execnz .LBB21_216
.LBB21_137:
	s_andn2_b64 vcc, exec, s[2:3]
	s_cbranch_vccnz .LBB21_254
.LBB21_138:
	v_add_u32_e32 v21, 0x80, v21
	s_mov_b64 s[2:3], -1
	s_branch .LBB21_255
.LBB21_139:
	s_mov_b64 s[4:5], -1
	s_mov_b64 s[2:3], 0
	s_mov_b64 s[0:1], s[38:39]
	s_branch .LBB21_174
.LBB21_140:
	s_mov_b64 s[4:5], -1
	s_mov_b64 s[2:3], 0
	s_mov_b64 s[0:1], s[38:39]
	s_branch .LBB21_157
.LBB21_141:
	s_andn2_saveexec_b64 s[6:7], s[6:7]
	s_cbranch_execz .LBB21_37
.LBB21_142:
	s_mov_b32 s10, 0x46000000
	v_add_f32_e64 v1, |v0|, s10
	v_and_b32_e32 v1, 0xff, v1
	v_cmp_ne_u32_e32 vcc, 0, v1
	s_andn2_b64 s[4:5], s[4:5], exec
	s_and_b64 s[10:11], vcc, exec
	s_or_b64 s[4:5], s[4:5], s[10:11]
	s_or_b64 exec, exec, s[6:7]
	v_mov_b32_e32 v4, 0
	s_and_saveexec_b64 s[6:7], s[4:5]
	s_cbranch_execnz .LBB21_38
	s_branch .LBB21_39
.LBB21_143:
	s_mov_b64 s[4:5], -1
	s_mov_b64 s[2:3], 0
	s_mov_b64 s[0:1], s[38:39]
	s_branch .LBB21_153
.LBB21_144:
	s_andn2_saveexec_b64 s[6:7], s[6:7]
	s_cbranch_execz .LBB21_49
.LBB21_145:
	s_mov_b32 s10, 0x42800000
	v_add_f32_e64 v1, |v0|, s10
	v_and_b32_e32 v1, 0xff, v1
	v_cmp_ne_u32_e32 vcc, 0, v1
	s_andn2_b64 s[4:5], s[4:5], exec
	s_and_b64 s[10:11], vcc, exec
	s_or_b64 s[4:5], s[4:5], s[10:11]
	s_or_b64 exec, exec, s[6:7]
	v_mov_b32_e32 v4, 0
	s_and_saveexec_b64 s[6:7], s[4:5]
	s_cbranch_execnz .LBB21_50
	s_branch .LBB21_51
.LBB21_146:
	s_mov_b64 s[4:5], -1
	s_mov_b64 s[2:3], 0
	s_mov_b64 s[0:1], s[38:39]
.LBB21_147:
	s_and_b64 vcc, exec, s[4:5]
	s_cbranch_vccz .LBB21_152
; %bb.148:
	s_cmp_eq_u32 s9, 44
	s_mov_b64 s[0:1], -1
	s_cbranch_scc0 .LBB21_152
; %bb.149:
	v_bfe_u32 v1, v0, 23, 8
	s_movk_i32 s0, 0xff
	v_cmp_ne_u32_e32 vcc, s0, v1
	v_mov_b32_e32 v4, 0xff
	s_and_saveexec_b64 s[2:3], vcc
; %bb.150:
	s_mov_b32 s0, 0x3fffff
	v_and_b32_e32 v5, 0x400000, v0
	v_and_or_b32 v1, v0, s0, v1
	v_cmp_ne_u32_e32 vcc, 0, v5
	v_cmp_ne_u32_e64 s[0:1], 0, v1
	s_and_b64 s[0:1], vcc, s[0:1]
	v_lshrrev_b32_e32 v4, 23, v0
	v_cndmask_b32_e64 v1, 0, 1, s[0:1]
	v_add_u32_e32 v4, v4, v1
; %bb.151:
	s_or_b64 exec, exec, s[2:3]
	s_mov_b64 s[2:3], -1
	s_mov_b64 s[0:1], 0
	global_store_byte v[2:3], v4, off
.LBB21_152:
	s_mov_b64 s[4:5], 0
.LBB21_153:
	s_and_b64 vcc, exec, s[4:5]
	s_cbranch_vccz .LBB21_156
; %bb.154:
	s_cmp_eq_u32 s9, 29
	s_mov_b64 s[0:1], -1
	s_cbranch_scc0 .LBB21_156
; %bb.155:
	v_trunc_f32_e32 v1, v0
	v_mul_f32_e32 v4, 0x2f800000, v1
	v_floor_f32_e32 v4, v4
	v_fmamk_f32 v1, v4, 0xcf800000, v1
	v_cvt_u32_f32_e32 v5, v4
	v_cvt_u32_f32_e32 v4, v1
	s_mov_b64 s[2:3], -1
	s_mov_b64 s[0:1], 0
	s_mov_b64 s[4:5], 0
	global_store_dwordx2 v[2:3], v[4:5], off
	s_branch .LBB21_157
.LBB21_156:
	s_mov_b64 s[4:5], 0
.LBB21_157:
	s_and_b64 vcc, exec, s[4:5]
	s_cbranch_vccz .LBB21_173
; %bb.158:
	s_cmp_lt_i32 s9, 27
	s_mov_b64 s[2:3], -1
	s_cbranch_scc1 .LBB21_164
; %bb.159:
	v_cvt_u32_f32_e32 v1, v0
	s_cmp_gt_i32 s9, 27
	s_cbranch_scc0 .LBB21_161
; %bb.160:
	s_mov_b64 s[2:3], 0
	global_store_dword v[2:3], v1, off
.LBB21_161:
	s_andn2_b64 vcc, exec, s[2:3]
	s_cbranch_vccnz .LBB21_163
; %bb.162:
	global_store_short v[2:3], v1, off
.LBB21_163:
	s_mov_b64 s[2:3], 0
.LBB21_164:
	s_andn2_b64 vcc, exec, s[2:3]
	s_cbranch_vccnz .LBB21_172
; %bb.165:
	v_and_b32_e32 v1, 0x7fffffff, v0
	s_mov_b32 s2, 0x43800000
	v_cmp_gt_u32_e32 vcc, s2, v1
	v_mov_b32_e32 v4, 0x80
	s_and_saveexec_b64 s[2:3], vcc
	s_cbranch_execz .LBB21_171
; %bb.166:
	s_mov_b32 s4, 0x3bffffff
	v_cmp_lt_u32_e32 vcc, s4, v1
	s_mov_b64 s[4:5], 0
                                        ; implicit-def: $vgpr1
	s_and_saveexec_b64 s[6:7], vcc
	s_xor_b64 s[6:7], exec, s[6:7]
	s_cbranch_execz .LBB21_268
; %bb.167:
	v_bfe_u32 v1, v0, 20, 1
	s_mov_b32 s10, 0x487ffff
	v_add3_u32 v1, v0, v1, s10
	s_mov_b64 s[4:5], exec
	v_lshrrev_b32_e32 v1, 20, v1
	s_andn2_saveexec_b64 s[6:7], s[6:7]
	s_cbranch_execnz .LBB21_269
.LBB21_168:
	s_or_b64 exec, exec, s[6:7]
	v_mov_b32_e32 v4, 0
	s_and_saveexec_b64 s[6:7], s[4:5]
.LBB21_169:
	v_lshrrev_b32_e32 v4, 24, v0
	s_movk_i32 s4, 0x80
	v_and_or_b32 v4, v4, s4, v1
.LBB21_170:
	s_or_b64 exec, exec, s[6:7]
.LBB21_171:
	s_or_b64 exec, exec, s[2:3]
	global_store_byte v[2:3], v4, off
.LBB21_172:
	s_mov_b64 s[2:3], -1
.LBB21_173:
	s_mov_b64 s[4:5], 0
.LBB21_174:
	s_and_b64 vcc, exec, s[4:5]
	s_cbranch_vccz .LBB21_215
; %bb.175:
	s_cmp_gt_i32 s9, 22
	s_mov_b64 s[4:5], -1
	s_cbranch_scc0 .LBB21_207
; %bb.176:
	s_cmp_lt_i32 s9, 24
	s_mov_b64 s[2:3], -1
	s_cbranch_scc1 .LBB21_196
; %bb.177:
	s_cmp_gt_i32 s9, 24
	s_cbranch_scc0 .LBB21_185
; %bb.178:
	v_and_b32_e32 v1, 0x7fffffff, v0
	s_mov_b32 s2, 0x47800000
	v_cmp_gt_u32_e32 vcc, s2, v1
	v_mov_b32_e32 v4, 0x80
	s_and_saveexec_b64 s[2:3], vcc
	s_cbranch_execz .LBB21_184
; %bb.179:
	s_mov_b32 s4, 0x37ffffff
	v_cmp_lt_u32_e32 vcc, s4, v1
	s_mov_b64 s[4:5], 0
                                        ; implicit-def: $vgpr1
	s_and_saveexec_b64 s[6:7], vcc
	s_xor_b64 s[6:7], exec, s[6:7]
	s_cbranch_execz .LBB21_271
; %bb.180:
	v_bfe_u32 v1, v0, 21, 1
	s_mov_b32 s10, 0x88fffff
	v_add3_u32 v1, v0, v1, s10
	s_mov_b64 s[4:5], exec
	v_lshrrev_b32_e32 v1, 21, v1
	s_andn2_saveexec_b64 s[6:7], s[6:7]
	s_cbranch_execnz .LBB21_272
.LBB21_181:
	s_or_b64 exec, exec, s[6:7]
	v_mov_b32_e32 v4, 0
	s_and_saveexec_b64 s[6:7], s[4:5]
.LBB21_182:
	v_lshrrev_b32_e32 v4, 24, v0
	s_movk_i32 s4, 0x80
	v_and_or_b32 v4, v4, s4, v1
.LBB21_183:
	s_or_b64 exec, exec, s[6:7]
.LBB21_184:
	s_or_b64 exec, exec, s[2:3]
	s_mov_b64 s[2:3], 0
	global_store_byte v[2:3], v4, off
.LBB21_185:
	s_and_b64 vcc, exec, s[2:3]
	s_cbranch_vccz .LBB21_195
; %bb.186:
	v_and_b32_e32 v4, 0x7fffffff, v0
	s_mov_b32 s2, 0x43f00000
	v_cmp_gt_u32_e32 vcc, s2, v4
                                        ; implicit-def: $vgpr1
	s_and_saveexec_b64 s[2:3], vcc
	s_xor_b64 s[2:3], exec, s[2:3]
	s_cbranch_execz .LBB21_192
; %bb.187:
	s_mov_b32 s4, 0x3c7fffff
	v_cmp_lt_u32_e32 vcc, s4, v4
                                        ; implicit-def: $vgpr1
	s_and_saveexec_b64 s[4:5], vcc
	s_xor_b64 s[4:5], exec, s[4:5]
; %bb.188:
	v_bfe_u32 v1, v0, 20, 1
	s_mov_b32 s6, 0x407ffff
	v_add3_u32 v1, v0, v1, s6
	v_lshrrev_b32_e32 v4, 20, v1
	v_and_b32_e32 v1, 0xff00000, v1
	s_mov_b32 s6, 0x7f00000
	v_mov_b32_e32 v5, 0x7e
	v_cmp_ne_u32_e32 vcc, s6, v1
	s_nop 1
	v_cndmask_b32_e32 v1, v5, v4, vcc
; %bb.189:
	s_andn2_saveexec_b64 s[4:5], s[4:5]
; %bb.190:
	s_mov_b32 s6, 0x46800000
	v_add_f32_e64 v1, |v0|, s6
; %bb.191:
	s_or_b64 exec, exec, s[4:5]
                                        ; implicit-def: $vgpr4
.LBB21_192:
	s_andn2_saveexec_b64 s[2:3], s[2:3]
; %bb.193:
	s_mov_b32 s4, 0x7f800000
	v_mov_b32_e32 v1, 0x7e
	v_mov_b32_e32 v5, 0x7f
	v_cmp_lt_u32_e32 vcc, s4, v4
	s_nop 1
	v_cndmask_b32_e32 v1, v1, v5, vcc
; %bb.194:
	s_or_b64 exec, exec, s[2:3]
	v_lshrrev_b32_e32 v4, 24, v0
	s_movk_i32 s2, 0x80
	v_and_or_b32 v1, v4, s2, v1
	global_store_byte v[2:3], v1, off
.LBB21_195:
	s_mov_b64 s[2:3], 0
.LBB21_196:
	s_andn2_b64 vcc, exec, s[2:3]
	s_cbranch_vccnz .LBB21_206
; %bb.197:
	v_and_b32_e32 v4, 0x7fffffff, v0
	s_mov_b32 s2, 0x47800000
	v_cmp_gt_u32_e32 vcc, s2, v4
                                        ; implicit-def: $vgpr1
	s_and_saveexec_b64 s[2:3], vcc
	s_xor_b64 s[2:3], exec, s[2:3]
	s_cbranch_execz .LBB21_203
; %bb.198:
	s_mov_b32 s4, 0x387fffff
	v_cmp_lt_u32_e32 vcc, s4, v4
                                        ; implicit-def: $vgpr1
	s_and_saveexec_b64 s[4:5], vcc
	s_xor_b64 s[4:5], exec, s[4:5]
; %bb.199:
	v_bfe_u32 v1, v0, 21, 1
	s_mov_b32 s6, 0x80fffff
	v_add3_u32 v1, v0, v1, s6
	v_lshrrev_b32_e32 v1, 21, v1
; %bb.200:
	s_andn2_saveexec_b64 s[4:5], s[4:5]
; %bb.201:
	s_mov_b32 s6, 0x43000000
	v_add_f32_e64 v1, |v0|, s6
; %bb.202:
	s_or_b64 exec, exec, s[4:5]
                                        ; implicit-def: $vgpr4
.LBB21_203:
	s_andn2_saveexec_b64 s[2:3], s[2:3]
; %bb.204:
	s_mov_b32 s4, 0x7f800000
	v_mov_b32_e32 v1, 0x7c
	v_mov_b32_e32 v5, 0x7f
	v_cmp_lt_u32_e32 vcc, s4, v4
	s_nop 1
	v_cndmask_b32_e32 v1, v1, v5, vcc
; %bb.205:
	s_or_b64 exec, exec, s[2:3]
	v_lshrrev_b32_e32 v4, 24, v0
	s_movk_i32 s2, 0x80
	v_and_or_b32 v1, v4, s2, v1
	global_store_byte v[2:3], v1, off
.LBB21_206:
	s_mov_b64 s[4:5], 0
	s_mov_b64 s[2:3], -1
.LBB21_207:
	s_andn2_b64 vcc, exec, s[4:5]
	s_cbranch_vccnz .LBB21_215
; %bb.208:
	s_cmp_gt_i32 s9, 14
	s_mov_b64 s[4:5], -1
	s_cbranch_scc0 .LBB21_212
; %bb.209:
	s_cmp_eq_u32 s9, 15
	s_mov_b64 s[0:1], -1
	s_cbranch_scc0 .LBB21_211
; %bb.210:
	v_bfe_u32 v1, v0, 16, 1
	s_movk_i32 s0, 0x7fff
	v_add3_u32 v1, v0, v1, s0
	v_cmp_o_f32_e32 vcc, v0, v0
	v_mov_b32_e32 v4, 0x7fc0
	s_mov_b64 s[2:3], -1
	v_cndmask_b32_sdwa v1, v4, v1, vcc dst_sel:DWORD dst_unused:UNUSED_PAD src0_sel:DWORD src1_sel:WORD_1
	global_store_short v[2:3], v1, off
	s_mov_b64 s[0:1], 0
.LBB21_211:
	s_mov_b64 s[4:5], 0
.LBB21_212:
	s_and_b64 vcc, exec, s[4:5]
	s_cbranch_vccz .LBB21_215
; %bb.213:
	s_cmp_eq_u32 s9, 11
	s_mov_b64 s[0:1], -1
	s_cbranch_scc0 .LBB21_215
; %bb.214:
	v_cmp_neq_f32_e32 vcc, 0, v0
	s_mov_b64 s[2:3], -1
	s_mov_b64 s[0:1], 0
	v_cndmask_b32_e64 v1, 0, 1, vcc
	global_store_byte v[2:3], v1, off
.LBB21_215:
	s_branch .LBB21_137
.LBB21_216:
	s_and_b32 s4, 0xffff, s8
	s_cmp_lt_i32 s4, 5
	s_mov_b64 s[2:3], -1
	s_cbranch_scc1 .LBB21_237
; %bb.217:
	s_cmp_lt_i32 s4, 8
	s_cbranch_scc1 .LBB21_227
; %bb.218:
	s_cmp_lt_i32 s4, 9
	s_cbranch_scc1 .LBB21_224
; %bb.219:
	s_cmp_gt_i32 s4, 9
	s_cbranch_scc0 .LBB21_221
; %bb.220:
	v_mov_b32_e32 v6, 0
	v_cvt_f64_f32_e32 v[4:5], v0
	v_mov_b32_e32 v7, v6
	s_mov_b64 s[2:3], 0
	global_store_dwordx4 v[2:3], v[4:7], off
.LBB21_221:
	s_andn2_b64 vcc, exec, s[2:3]
	s_cbranch_vccnz .LBB21_223
; %bb.222:
	v_mov_b32_e32 v1, 0
	global_store_dwordx2 v[2:3], v[0:1], off
.LBB21_223:
	s_mov_b64 s[2:3], 0
.LBB21_224:
	s_andn2_b64 vcc, exec, s[2:3]
	s_cbranch_vccnz .LBB21_226
; %bb.225:
	v_cvt_f16_f32_e32 v1, v0
	global_store_dword v[2:3], v1, off
.LBB21_226:
	s_mov_b64 s[2:3], 0
.LBB21_227:
	s_andn2_b64 vcc, exec, s[2:3]
	s_cbranch_vccnz .LBB21_236
; %bb.228:
	s_cmp_lt_i32 s4, 6
	s_mov_b64 s[2:3], -1
	s_cbranch_scc1 .LBB21_234
; %bb.229:
	s_cmp_gt_i32 s4, 6
	s_cbranch_scc0 .LBB21_231
; %bb.230:
	v_cvt_f64_f32_e32 v[4:5], v0
	s_mov_b64 s[2:3], 0
	global_store_dwordx2 v[2:3], v[4:5], off
.LBB21_231:
	s_andn2_b64 vcc, exec, s[2:3]
	s_cbranch_vccnz .LBB21_233
; %bb.232:
	global_store_dword v[2:3], v0, off
.LBB21_233:
	s_mov_b64 s[2:3], 0
.LBB21_234:
	s_andn2_b64 vcc, exec, s[2:3]
	s_cbranch_vccnz .LBB21_236
; %bb.235:
	v_cvt_f16_f32_e32 v1, v0
	global_store_short v[2:3], v1, off
.LBB21_236:
	s_mov_b64 s[2:3], 0
.LBB21_237:
	s_andn2_b64 vcc, exec, s[2:3]
	s_cbranch_vccnz .LBB21_253
; %bb.238:
	s_cmp_lt_i32 s4, 2
	s_mov_b64 s[2:3], -1
	s_cbranch_scc1 .LBB21_248
; %bb.239:
	s_cmp_lt_i32 s4, 3
	s_cbranch_scc1 .LBB21_245
; %bb.240:
	s_cmp_gt_i32 s4, 3
	s_cbranch_scc0 .LBB21_242
; %bb.241:
	v_trunc_f32_e32 v1, v0
	s_mov_b32 s2, 0x2f800000
	v_mul_f32_e64 v4, |v1|, s2
	v_floor_f32_e32 v4, v4
	s_mov_b32 s2, 0xcf800000
	v_cvt_u32_f32_e32 v5, v4
	v_fma_f32 v4, v4, s2, |v1|
	v_cvt_u32_f32_e32 v4, v4
	v_ashrrev_i32_e32 v1, 31, v1
	v_xor_b32_e32 v5, v5, v1
	s_mov_b64 s[2:3], 0
	v_xor_b32_e32 v4, v4, v1
	v_sub_co_u32_e32 v4, vcc, v4, v1
	s_nop 1
	v_subb_co_u32_e32 v5, vcc, v5, v1, vcc
	global_store_dwordx2 v[2:3], v[4:5], off
.LBB21_242:
	s_andn2_b64 vcc, exec, s[2:3]
	s_cbranch_vccnz .LBB21_244
; %bb.243:
	v_cvt_i32_f32_e32 v1, v0
	global_store_dword v[2:3], v1, off
.LBB21_244:
	s_mov_b64 s[2:3], 0
.LBB21_245:
	s_andn2_b64 vcc, exec, s[2:3]
	s_cbranch_vccnz .LBB21_247
; %bb.246:
	v_cvt_i32_f32_e32 v1, v0
	global_store_short v[2:3], v1, off
.LBB21_247:
	s_mov_b64 s[2:3], 0
.LBB21_248:
	s_andn2_b64 vcc, exec, s[2:3]
	s_cbranch_vccnz .LBB21_253
; %bb.249:
	s_cmp_gt_i32 s4, 0
	s_mov_b64 s[2:3], -1
	s_cbranch_scc0 .LBB21_251
; %bb.250:
	v_cvt_i32_f32_e32 v1, v0
	s_mov_b64 s[2:3], 0
	global_store_byte v[2:3], v1, off
.LBB21_251:
	s_andn2_b64 vcc, exec, s[2:3]
	s_cbranch_vccnz .LBB21_253
; %bb.252:
	v_trunc_f32_e32 v0, v0
	s_mov_b32 s2, 0x2f800000
	v_mul_f32_e64 v1, |v0|, s2
	v_floor_f32_e32 v1, v1
	s_mov_b32 s2, 0xcf800000
	v_fma_f32 v1, v1, s2, |v0|
	v_cvt_u32_f32_e32 v1, v1
	v_ashrrev_i32_e32 v0, 31, v0
	v_xor_b32_e32 v1, v1, v0
	v_sub_u32_e32 v0, v1, v0
	global_store_byte v[2:3], v0, off
.LBB21_253:
	s_branch .LBB21_138
.LBB21_254:
	s_mov_b64 s[2:3], 0
                                        ; implicit-def: $vgpr21
.LBB21_255:
	s_andn2_b64 s[4:5], s[38:39], exec
	s_and_b64 s[0:1], s[0:1], exec
	s_or_b64 s[42:43], s[4:5], s[0:1]
	s_orn2_b64 s[4:5], s[2:3], exec
.LBB21_256:
	s_or_b64 exec, exec, s[44:45]
	s_mov_b64 s[0:1], 0
	s_mov_b64 s[2:3], 0
                                        ; implicit-def: $sgpr10
                                        ; implicit-def: $vgpr2_vgpr3
                                        ; implicit-def: $vgpr0
	s_and_saveexec_b64 s[44:45], s[4:5]
	s_cbranch_execz .LBB21_467
; %bb.257:
	v_cmp_gt_i32_e32 vcc, s50, v21
	s_mov_b64 s[2:3], -1
	s_mov_b64 s[48:49], s[42:43]
	s_and_saveexec_b64 s[46:47], vcc
	s_cbranch_execz .LBB21_386
; %bb.258:
	s_getpc_b64 s[0:1]
	s_add_u32 s0, s0, _ZN2at6native6invokeIZZZNS0_12_GLOBAL__N_121bessel_y1_kernel_cudaERNS_18TensorIteratorBaseEENKUlvE_clEvENKUlvE0_clEvEUlfE_i15function_traitsIS7_EEENT1_11result_typeERKT_PrKPcPKT0_PKN3c1010ScalarTypeEi@rel32@lo+4
	s_addc_u32 s1, s1, _ZN2at6native6invokeIZZZNS0_12_GLOBAL__N_121bessel_y1_kernel_cudaERNS_18TensorIteratorBaseEENKUlvE_clEvENKUlvE0_clEvEUlfE_i15function_traitsIS7_EEENT1_11result_typeERKT_PrKPcPKT0_PKN3c1010ScalarTypeEi@rel32@hi+12
	v_mov_b32_e32 v0, s26
	v_mov_b32_e32 v1, s27
	;; [unrolled: 1-line block ×5, first 2 shown]
	s_swappc_b64 s[30:31], s[0:1]
	v_mul_lo_u32 v2, v21, s28
	v_ashrrev_i32_e32 v3, 31, v2
	s_and_b32 s8, s33, 0xff
	s_cmp_lt_i32 s8, 11
	v_lshl_add_u64 v[2:3], s[24:25], 0, v[2:3]
	s_cbranch_scc1 .LBB21_265
; %bb.259:
	s_and_b32 s9, 0xffff, s8
	s_cmp_gt_i32 s9, 25
	s_cbranch_scc0 .LBB21_266
; %bb.260:
	s_cmp_gt_i32 s9, 28
	s_cbranch_scc0 .LBB21_267
; %bb.261:
	;; [unrolled: 3-line block ×4, first 2 shown]
	s_mov_b64 s[4:5], 0
	s_mov_b64 s[0:1], -1
	s_cmp_eq_u32 s9, 46
	s_mov_b64 s[2:3], 0
	s_cbranch_scc0 .LBB21_274
; %bb.264:
	v_bfe_u32 v1, v0, 16, 1
	s_movk_i32 s0, 0x7fff
	v_add3_u32 v1, v0, v1, s0
	v_cmp_o_f32_e32 vcc, v0, v0
	v_mov_b32_e32 v4, 0x7fc0
	s_mov_b64 s[2:3], -1
	v_cndmask_b32_sdwa v1, v4, v1, vcc dst_sel:DWORD dst_unused:UNUSED_PAD src0_sel:DWORD src1_sel:WORD_1
	global_store_dword v[2:3], v1, off
	s_mov_b64 s[0:1], 0
	s_branch .LBB21_274
.LBB21_265:
	s_mov_b64 s[4:5], -1
	s_mov_b64 s[2:3], 0
	s_mov_b64 s[0:1], s[42:43]
	s_branch .LBB21_343
.LBB21_266:
	s_mov_b64 s[4:5], -1
	s_mov_b64 s[2:3], 0
	s_mov_b64 s[0:1], s[42:43]
	s_branch .LBB21_301
.LBB21_267:
	s_mov_b64 s[4:5], -1
	s_mov_b64 s[2:3], 0
	s_mov_b64 s[0:1], s[42:43]
	s_branch .LBB21_284
.LBB21_268:
	s_andn2_saveexec_b64 s[6:7], s[6:7]
	s_cbranch_execz .LBB21_168
.LBB21_269:
	s_mov_b32 s10, 0x46000000
	v_add_f32_e64 v1, |v0|, s10
	v_and_b32_e32 v1, 0xff, v1
	v_cmp_ne_u32_e32 vcc, 0, v1
	s_andn2_b64 s[4:5], s[4:5], exec
	s_and_b64 s[10:11], vcc, exec
	s_or_b64 s[4:5], s[4:5], s[10:11]
	s_or_b64 exec, exec, s[6:7]
	v_mov_b32_e32 v4, 0
	s_and_saveexec_b64 s[6:7], s[4:5]
	s_cbranch_execnz .LBB21_169
	s_branch .LBB21_170
.LBB21_270:
	s_mov_b64 s[4:5], -1
	s_mov_b64 s[2:3], 0
	s_mov_b64 s[0:1], s[42:43]
	s_branch .LBB21_280
.LBB21_271:
	s_andn2_saveexec_b64 s[6:7], s[6:7]
	s_cbranch_execz .LBB21_181
.LBB21_272:
	s_mov_b32 s10, 0x42800000
	v_add_f32_e64 v1, |v0|, s10
	v_and_b32_e32 v1, 0xff, v1
	v_cmp_ne_u32_e32 vcc, 0, v1
	s_andn2_b64 s[4:5], s[4:5], exec
	s_and_b64 s[10:11], vcc, exec
	s_or_b64 s[4:5], s[4:5], s[10:11]
	s_or_b64 exec, exec, s[6:7]
	v_mov_b32_e32 v4, 0
	s_and_saveexec_b64 s[6:7], s[4:5]
	s_cbranch_execnz .LBB21_182
	s_branch .LBB21_183
.LBB21_273:
	s_mov_b64 s[4:5], -1
	s_mov_b64 s[2:3], 0
	s_mov_b64 s[0:1], s[42:43]
.LBB21_274:
	s_and_b64 vcc, exec, s[4:5]
	s_cbranch_vccz .LBB21_279
; %bb.275:
	s_cmp_eq_u32 s9, 44
	s_mov_b64 s[0:1], -1
	s_cbranch_scc0 .LBB21_279
; %bb.276:
	v_bfe_u32 v1, v0, 23, 8
	s_movk_i32 s0, 0xff
	v_cmp_ne_u32_e32 vcc, s0, v1
	v_mov_b32_e32 v4, 0xff
	s_and_saveexec_b64 s[2:3], vcc
; %bb.277:
	s_mov_b32 s0, 0x3fffff
	v_and_b32_e32 v5, 0x400000, v0
	v_and_or_b32 v1, v0, s0, v1
	v_cmp_ne_u32_e32 vcc, 0, v5
	v_cmp_ne_u32_e64 s[0:1], 0, v1
	s_and_b64 s[0:1], vcc, s[0:1]
	v_lshrrev_b32_e32 v4, 23, v0
	v_cndmask_b32_e64 v1, 0, 1, s[0:1]
	v_add_u32_e32 v4, v4, v1
; %bb.278:
	s_or_b64 exec, exec, s[2:3]
	s_mov_b64 s[2:3], -1
	s_mov_b64 s[0:1], 0
	global_store_byte v[2:3], v4, off
.LBB21_279:
	s_mov_b64 s[4:5], 0
.LBB21_280:
	s_and_b64 vcc, exec, s[4:5]
	s_cbranch_vccz .LBB21_283
; %bb.281:
	s_cmp_eq_u32 s9, 29
	s_mov_b64 s[0:1], -1
	s_cbranch_scc0 .LBB21_283
; %bb.282:
	v_trunc_f32_e32 v1, v0
	v_mul_f32_e32 v4, 0x2f800000, v1
	v_floor_f32_e32 v4, v4
	v_fmamk_f32 v1, v4, 0xcf800000, v1
	v_cvt_u32_f32_e32 v5, v4
	v_cvt_u32_f32_e32 v4, v1
	s_mov_b64 s[2:3], -1
	s_mov_b64 s[0:1], 0
	s_mov_b64 s[4:5], 0
	global_store_dwordx2 v[2:3], v[4:5], off
	s_branch .LBB21_284
.LBB21_283:
	s_mov_b64 s[4:5], 0
.LBB21_284:
	s_and_b64 vcc, exec, s[4:5]
	s_cbranch_vccz .LBB21_300
; %bb.285:
	s_cmp_lt_i32 s9, 27
	s_mov_b64 s[2:3], -1
	s_cbranch_scc1 .LBB21_291
; %bb.286:
	v_cvt_u32_f32_e32 v1, v0
	s_cmp_gt_i32 s9, 27
	s_cbranch_scc0 .LBB21_288
; %bb.287:
	s_mov_b64 s[2:3], 0
	global_store_dword v[2:3], v1, off
.LBB21_288:
	s_andn2_b64 vcc, exec, s[2:3]
	s_cbranch_vccnz .LBB21_290
; %bb.289:
	global_store_short v[2:3], v1, off
.LBB21_290:
	s_mov_b64 s[2:3], 0
.LBB21_291:
	s_andn2_b64 vcc, exec, s[2:3]
	s_cbranch_vccnz .LBB21_299
; %bb.292:
	v_and_b32_e32 v1, 0x7fffffff, v0
	s_mov_b32 s2, 0x43800000
	v_cmp_gt_u32_e32 vcc, s2, v1
	v_mov_b32_e32 v4, 0x80
	s_and_saveexec_b64 s[2:3], vcc
	s_cbranch_execz .LBB21_298
; %bb.293:
	s_mov_b32 s4, 0x3bffffff
	v_cmp_lt_u32_e32 vcc, s4, v1
	s_mov_b64 s[4:5], 0
                                        ; implicit-def: $vgpr1
	s_and_saveexec_b64 s[6:7], vcc
	s_xor_b64 s[6:7], exec, s[6:7]
	s_cbranch_execz .LBB21_998
; %bb.294:
	v_bfe_u32 v1, v0, 20, 1
	s_mov_b32 s10, 0x487ffff
	v_add3_u32 v1, v0, v1, s10
	s_mov_b64 s[4:5], exec
	v_lshrrev_b32_e32 v1, 20, v1
	s_andn2_saveexec_b64 s[6:7], s[6:7]
	s_cbranch_execnz .LBB21_999
.LBB21_295:
	s_or_b64 exec, exec, s[6:7]
	v_mov_b32_e32 v4, 0
	s_and_saveexec_b64 s[6:7], s[4:5]
.LBB21_296:
	v_lshrrev_b32_e32 v4, 24, v0
	s_movk_i32 s4, 0x80
	v_and_or_b32 v4, v4, s4, v1
.LBB21_297:
	s_or_b64 exec, exec, s[6:7]
.LBB21_298:
	s_or_b64 exec, exec, s[2:3]
	global_store_byte v[2:3], v4, off
.LBB21_299:
	s_mov_b64 s[2:3], -1
.LBB21_300:
	s_mov_b64 s[4:5], 0
.LBB21_301:
	s_and_b64 vcc, exec, s[4:5]
	s_cbranch_vccz .LBB21_342
; %bb.302:
	s_cmp_gt_i32 s9, 22
	s_mov_b64 s[4:5], -1
	s_cbranch_scc0 .LBB21_334
; %bb.303:
	s_cmp_lt_i32 s9, 24
	s_mov_b64 s[2:3], -1
	s_cbranch_scc1 .LBB21_323
; %bb.304:
	s_cmp_gt_i32 s9, 24
	s_cbranch_scc0 .LBB21_312
; %bb.305:
	v_and_b32_e32 v1, 0x7fffffff, v0
	s_mov_b32 s2, 0x47800000
	v_cmp_gt_u32_e32 vcc, s2, v1
	v_mov_b32_e32 v4, 0x80
	s_and_saveexec_b64 s[2:3], vcc
	s_cbranch_execz .LBB21_311
; %bb.306:
	s_mov_b32 s4, 0x37ffffff
	v_cmp_lt_u32_e32 vcc, s4, v1
	s_mov_b64 s[4:5], 0
                                        ; implicit-def: $vgpr1
	s_and_saveexec_b64 s[6:7], vcc
	s_xor_b64 s[6:7], exec, s[6:7]
	s_cbranch_execz .LBB21_1005
; %bb.307:
	v_bfe_u32 v1, v0, 21, 1
	s_mov_b32 s10, 0x88fffff
	v_add3_u32 v1, v0, v1, s10
	s_mov_b64 s[4:5], exec
	v_lshrrev_b32_e32 v1, 21, v1
	s_andn2_saveexec_b64 s[6:7], s[6:7]
	s_cbranch_execnz .LBB21_1006
.LBB21_308:
	s_or_b64 exec, exec, s[6:7]
	v_mov_b32_e32 v4, 0
	s_and_saveexec_b64 s[6:7], s[4:5]
.LBB21_309:
	v_lshrrev_b32_e32 v4, 24, v0
	s_movk_i32 s4, 0x80
	v_and_or_b32 v4, v4, s4, v1
.LBB21_310:
	s_or_b64 exec, exec, s[6:7]
.LBB21_311:
	s_or_b64 exec, exec, s[2:3]
	s_mov_b64 s[2:3], 0
	global_store_byte v[2:3], v4, off
.LBB21_312:
	s_and_b64 vcc, exec, s[2:3]
	s_cbranch_vccz .LBB21_322
; %bb.313:
	v_and_b32_e32 v4, 0x7fffffff, v0
	s_mov_b32 s2, 0x43f00000
	v_cmp_gt_u32_e32 vcc, s2, v4
                                        ; implicit-def: $vgpr1
	s_and_saveexec_b64 s[2:3], vcc
	s_xor_b64 s[2:3], exec, s[2:3]
	s_cbranch_execz .LBB21_319
; %bb.314:
	s_mov_b32 s4, 0x3c7fffff
	v_cmp_lt_u32_e32 vcc, s4, v4
                                        ; implicit-def: $vgpr1
	s_and_saveexec_b64 s[4:5], vcc
	s_xor_b64 s[4:5], exec, s[4:5]
; %bb.315:
	v_bfe_u32 v1, v0, 20, 1
	s_mov_b32 s6, 0x407ffff
	v_add3_u32 v1, v0, v1, s6
	v_lshrrev_b32_e32 v4, 20, v1
	v_and_b32_e32 v1, 0xff00000, v1
	s_mov_b32 s6, 0x7f00000
	v_mov_b32_e32 v5, 0x7e
	v_cmp_ne_u32_e32 vcc, s6, v1
	s_nop 1
	v_cndmask_b32_e32 v1, v5, v4, vcc
; %bb.316:
	s_andn2_saveexec_b64 s[4:5], s[4:5]
; %bb.317:
	s_mov_b32 s6, 0x46800000
	v_add_f32_e64 v1, |v0|, s6
; %bb.318:
	s_or_b64 exec, exec, s[4:5]
                                        ; implicit-def: $vgpr4
.LBB21_319:
	s_andn2_saveexec_b64 s[2:3], s[2:3]
; %bb.320:
	s_mov_b32 s4, 0x7f800000
	v_mov_b32_e32 v1, 0x7e
	v_mov_b32_e32 v5, 0x7f
	v_cmp_lt_u32_e32 vcc, s4, v4
	s_nop 1
	v_cndmask_b32_e32 v1, v1, v5, vcc
; %bb.321:
	s_or_b64 exec, exec, s[2:3]
	v_lshrrev_b32_e32 v4, 24, v0
	s_movk_i32 s2, 0x80
	v_and_or_b32 v1, v4, s2, v1
	global_store_byte v[2:3], v1, off
.LBB21_322:
	s_mov_b64 s[2:3], 0
.LBB21_323:
	s_andn2_b64 vcc, exec, s[2:3]
	s_cbranch_vccnz .LBB21_333
; %bb.324:
	v_and_b32_e32 v4, 0x7fffffff, v0
	s_mov_b32 s2, 0x47800000
	v_cmp_gt_u32_e32 vcc, s2, v4
                                        ; implicit-def: $vgpr1
	s_and_saveexec_b64 s[2:3], vcc
	s_xor_b64 s[2:3], exec, s[2:3]
	s_cbranch_execz .LBB21_330
; %bb.325:
	s_mov_b32 s4, 0x387fffff
	v_cmp_lt_u32_e32 vcc, s4, v4
                                        ; implicit-def: $vgpr1
	s_and_saveexec_b64 s[4:5], vcc
	s_xor_b64 s[4:5], exec, s[4:5]
; %bb.326:
	v_bfe_u32 v1, v0, 21, 1
	s_mov_b32 s6, 0x80fffff
	v_add3_u32 v1, v0, v1, s6
	v_lshrrev_b32_e32 v1, 21, v1
; %bb.327:
	s_andn2_saveexec_b64 s[4:5], s[4:5]
; %bb.328:
	s_mov_b32 s6, 0x43000000
	v_add_f32_e64 v1, |v0|, s6
; %bb.329:
	s_or_b64 exec, exec, s[4:5]
                                        ; implicit-def: $vgpr4
.LBB21_330:
	s_andn2_saveexec_b64 s[2:3], s[2:3]
; %bb.331:
	s_mov_b32 s4, 0x7f800000
	v_mov_b32_e32 v1, 0x7c
	v_mov_b32_e32 v5, 0x7f
	v_cmp_lt_u32_e32 vcc, s4, v4
	s_nop 1
	v_cndmask_b32_e32 v1, v1, v5, vcc
; %bb.332:
	s_or_b64 exec, exec, s[2:3]
	v_lshrrev_b32_e32 v4, 24, v0
	s_movk_i32 s2, 0x80
	v_and_or_b32 v1, v4, s2, v1
	global_store_byte v[2:3], v1, off
.LBB21_333:
	s_mov_b64 s[4:5], 0
	s_mov_b64 s[2:3], -1
.LBB21_334:
	s_andn2_b64 vcc, exec, s[4:5]
	s_cbranch_vccnz .LBB21_342
; %bb.335:
	s_cmp_gt_i32 s9, 14
	s_mov_b64 s[4:5], -1
	s_cbranch_scc0 .LBB21_339
; %bb.336:
	s_cmp_eq_u32 s9, 15
	s_mov_b64 s[0:1], -1
	s_cbranch_scc0 .LBB21_338
; %bb.337:
	v_bfe_u32 v1, v0, 16, 1
	s_movk_i32 s0, 0x7fff
	v_add3_u32 v1, v0, v1, s0
	v_cmp_o_f32_e32 vcc, v0, v0
	v_mov_b32_e32 v4, 0x7fc0
	s_mov_b64 s[2:3], -1
	v_cndmask_b32_sdwa v1, v4, v1, vcc dst_sel:DWORD dst_unused:UNUSED_PAD src0_sel:DWORD src1_sel:WORD_1
	global_store_short v[2:3], v1, off
	s_mov_b64 s[0:1], 0
.LBB21_338:
	s_mov_b64 s[4:5], 0
.LBB21_339:
	s_and_b64 vcc, exec, s[4:5]
	s_cbranch_vccz .LBB21_342
; %bb.340:
	s_cmp_eq_u32 s9, 11
	s_mov_b64 s[0:1], -1
	s_cbranch_scc0 .LBB21_342
; %bb.341:
	v_cmp_neq_f32_e32 vcc, 0, v0
	s_mov_b64 s[2:3], -1
	s_mov_b64 s[0:1], 0
	v_cndmask_b32_e64 v1, 0, 1, vcc
	global_store_byte v[2:3], v1, off
.LBB21_342:
	s_mov_b64 s[4:5], 0
.LBB21_343:
	s_and_b64 vcc, exec, s[4:5]
	s_cbranch_vccz .LBB21_382
; %bb.344:
	s_and_b32 s4, 0xffff, s8
	s_cmp_lt_i32 s4, 5
	s_mov_b64 s[2:3], -1
	s_cbranch_scc1 .LBB21_365
; %bb.345:
	s_cmp_lt_i32 s4, 8
	s_cbranch_scc1 .LBB21_355
; %bb.346:
	s_cmp_lt_i32 s4, 9
	s_cbranch_scc1 .LBB21_352
; %bb.347:
	s_cmp_gt_i32 s4, 9
	s_cbranch_scc0 .LBB21_349
; %bb.348:
	v_mov_b32_e32 v6, 0
	v_cvt_f64_f32_e32 v[4:5], v0
	v_mov_b32_e32 v7, v6
	s_mov_b64 s[2:3], 0
	global_store_dwordx4 v[2:3], v[4:7], off
.LBB21_349:
	s_andn2_b64 vcc, exec, s[2:3]
	s_cbranch_vccnz .LBB21_351
; %bb.350:
	v_mov_b32_e32 v1, 0
	global_store_dwordx2 v[2:3], v[0:1], off
.LBB21_351:
	s_mov_b64 s[2:3], 0
.LBB21_352:
	s_andn2_b64 vcc, exec, s[2:3]
	s_cbranch_vccnz .LBB21_354
; %bb.353:
	v_cvt_f16_f32_e32 v1, v0
	global_store_dword v[2:3], v1, off
.LBB21_354:
	s_mov_b64 s[2:3], 0
.LBB21_355:
	s_andn2_b64 vcc, exec, s[2:3]
	s_cbranch_vccnz .LBB21_364
; %bb.356:
	s_cmp_lt_i32 s4, 6
	s_mov_b64 s[2:3], -1
	s_cbranch_scc1 .LBB21_362
; %bb.357:
	s_cmp_gt_i32 s4, 6
	s_cbranch_scc0 .LBB21_359
; %bb.358:
	v_cvt_f64_f32_e32 v[4:5], v0
	s_mov_b64 s[2:3], 0
	global_store_dwordx2 v[2:3], v[4:5], off
.LBB21_359:
	s_andn2_b64 vcc, exec, s[2:3]
	s_cbranch_vccnz .LBB21_361
; %bb.360:
	global_store_dword v[2:3], v0, off
.LBB21_361:
	s_mov_b64 s[2:3], 0
.LBB21_362:
	s_andn2_b64 vcc, exec, s[2:3]
	s_cbranch_vccnz .LBB21_364
; %bb.363:
	v_cvt_f16_f32_e32 v1, v0
	global_store_short v[2:3], v1, off
.LBB21_364:
	s_mov_b64 s[2:3], 0
.LBB21_365:
	s_andn2_b64 vcc, exec, s[2:3]
	s_cbranch_vccnz .LBB21_381
; %bb.366:
	s_cmp_lt_i32 s4, 2
	s_mov_b64 s[2:3], -1
	s_cbranch_scc1 .LBB21_376
; %bb.367:
	s_cmp_lt_i32 s4, 3
	s_cbranch_scc1 .LBB21_373
; %bb.368:
	s_cmp_gt_i32 s4, 3
	s_cbranch_scc0 .LBB21_370
; %bb.369:
	v_trunc_f32_e32 v1, v0
	s_mov_b32 s2, 0x2f800000
	v_mul_f32_e64 v4, |v1|, s2
	v_floor_f32_e32 v4, v4
	s_mov_b32 s2, 0xcf800000
	v_cvt_u32_f32_e32 v5, v4
	v_fma_f32 v4, v4, s2, |v1|
	v_cvt_u32_f32_e32 v4, v4
	v_ashrrev_i32_e32 v1, 31, v1
	v_xor_b32_e32 v5, v5, v1
	s_mov_b64 s[2:3], 0
	v_xor_b32_e32 v4, v4, v1
	v_sub_co_u32_e32 v4, vcc, v4, v1
	s_nop 1
	v_subb_co_u32_e32 v5, vcc, v5, v1, vcc
	global_store_dwordx2 v[2:3], v[4:5], off
.LBB21_370:
	s_andn2_b64 vcc, exec, s[2:3]
	s_cbranch_vccnz .LBB21_372
; %bb.371:
	v_cvt_i32_f32_e32 v1, v0
	global_store_dword v[2:3], v1, off
.LBB21_372:
	s_mov_b64 s[2:3], 0
.LBB21_373:
	s_andn2_b64 vcc, exec, s[2:3]
	s_cbranch_vccnz .LBB21_375
; %bb.374:
	v_cvt_i32_f32_e32 v1, v0
	global_store_short v[2:3], v1, off
.LBB21_375:
	s_mov_b64 s[2:3], 0
.LBB21_376:
	s_andn2_b64 vcc, exec, s[2:3]
	s_cbranch_vccnz .LBB21_381
; %bb.377:
	s_cmp_gt_i32 s4, 0
	s_mov_b64 s[2:3], -1
	s_cbranch_scc0 .LBB21_379
; %bb.378:
	v_cvt_i32_f32_e32 v1, v0
	s_mov_b64 s[2:3], 0
	global_store_byte v[2:3], v1, off
.LBB21_379:
	s_andn2_b64 vcc, exec, s[2:3]
	s_cbranch_vccnz .LBB21_381
; %bb.380:
	v_trunc_f32_e32 v0, v0
	s_mov_b32 s2, 0x2f800000
	v_mul_f32_e64 v1, |v0|, s2
	v_floor_f32_e32 v1, v1
	s_mov_b32 s2, 0xcf800000
	v_fma_f32 v1, v1, s2, |v0|
	v_cvt_u32_f32_e32 v1, v1
	v_ashrrev_i32_e32 v0, 31, v0
	v_xor_b32_e32 v1, v1, v0
	v_sub_u32_e32 v0, v1, v0
	global_store_byte v[2:3], v0, off
.LBB21_381:
	s_mov_b64 s[2:3], -1
.LBB21_382:
	s_andn2_b64 vcc, exec, s[2:3]
	s_cbranch_vccnz .LBB21_384
; %bb.383:
	v_add_u32_e32 v21, 0x80, v21
	s_mov_b64 s[2:3], -1
	s_branch .LBB21_385
.LBB21_384:
	s_mov_b64 s[2:3], 0
                                        ; implicit-def: $vgpr21
.LBB21_385:
	s_andn2_b64 s[4:5], s[42:43], exec
	s_and_b64 s[0:1], s[0:1], exec
	s_or_b64 s[48:49], s[4:5], s[0:1]
	s_orn2_b64 s[2:3], s[2:3], exec
.LBB21_386:
	s_or_b64 exec, exec, s[46:47]
	s_mov_b64 s[0:1], 0
	s_mov_b64 s[6:7], 0
                                        ; implicit-def: $sgpr10
                                        ; implicit-def: $vgpr2_vgpr3
                                        ; implicit-def: $vgpr0
	s_and_saveexec_b64 s[46:47], s[2:3]
	s_cbranch_execz .LBB21_466
; %bb.387:
	v_cmp_gt_i32_e32 vcc, s50, v21
	s_mov_b64 s[2:3], 0
	s_mov_b64 s[4:5], s[48:49]
                                        ; implicit-def: $sgpr10
                                        ; implicit-def: $vgpr2_vgpr3
                                        ; implicit-def: $vgpr0
	s_and_saveexec_b64 s[50:51], vcc
	s_cbranch_execz .LBB21_465
; %bb.388:
	s_getpc_b64 s[0:1]
	s_add_u32 s0, s0, _ZN2at6native6invokeIZZZNS0_12_GLOBAL__N_121bessel_y1_kernel_cudaERNS_18TensorIteratorBaseEENKUlvE_clEvENKUlvE0_clEvEUlfE_i15function_traitsIS7_EEENT1_11result_typeERKT_PrKPcPKT0_PKN3c1010ScalarTypeEi@rel32@lo+4
	s_addc_u32 s1, s1, _ZN2at6native6invokeIZZZNS0_12_GLOBAL__N_121bessel_y1_kernel_cudaERNS_18TensorIteratorBaseEENKUlvE_clEvENKUlvE0_clEvEUlfE_i15function_traitsIS7_EEENT1_11result_typeERKT_PrKPcPKT0_PKN3c1010ScalarTypeEi@rel32@hi+12
	v_mov_b32_e32 v0, s26
	v_mov_b32_e32 v1, s27
	;; [unrolled: 1-line block ×5, first 2 shown]
	s_swappc_b64 s[30:31], s[0:1]
	v_mul_lo_u32 v2, v21, s28
	v_ashrrev_i32_e32 v3, 31, v2
	s_and_b32 s10, s33, 0xff
	s_cmp_lt_i32 s10, 11
	v_lshl_add_u64 v[2:3], s[24:25], 0, v[2:3]
	s_cbranch_scc1 .LBB21_405
; %bb.389:
	s_and_b32 s11, 0xffff, s10
	s_mov_b64 s[4:5], -1
	s_cmp_gt_i32 s11, 25
	s_mov_b64 s[0:1], s[48:49]
	s_cbranch_scc0 .LBB21_423
; %bb.390:
	s_mov_b64 s[2:3], -1
	s_cmp_gt_i32 s11, 28
	s_mov_b64 s[0:1], s[48:49]
	s_cbranch_scc0 .LBB21_407
; %bb.391:
	s_cmp_gt_i32 s11, 43
	s_mov_b64 s[0:1], s[48:49]
	s_cbranch_scc0 .LBB21_402
; %bb.392:
	;; [unrolled: 4-line block ×3, first 2 shown]
	s_cmp_eq_u32 s11, 46
	s_mov_b64 s[0:1], -1
	s_cbranch_scc0 .LBB21_395
; %bb.394:
	v_bfe_u32 v1, v0, 16, 1
	s_movk_i32 s0, 0x7fff
	v_add3_u32 v1, v0, v1, s0
	v_cmp_o_f32_e32 vcc, v0, v0
	v_mov_b32_e32 v4, 0x7fc0
	s_mov_b64 s[0:1], 0
	v_cndmask_b32_sdwa v1, v4, v1, vcc dst_sel:DWORD dst_unused:UNUSED_PAD src0_sel:DWORD src1_sel:WORD_1
	global_store_dword v[2:3], v1, off
.LBB21_395:
	s_mov_b64 s[2:3], 0
.LBB21_396:
	s_and_b64 vcc, exec, s[2:3]
	s_cbranch_vccz .LBB21_401
; %bb.397:
	s_cmp_eq_u32 s11, 44
	s_mov_b64 s[0:1], -1
	s_cbranch_scc0 .LBB21_401
; %bb.398:
	v_bfe_u32 v1, v0, 23, 8
	s_movk_i32 s0, 0xff
	v_cmp_ne_u32_e32 vcc, s0, v1
	v_mov_b32_e32 v4, 0xff
	s_and_saveexec_b64 s[2:3], vcc
; %bb.399:
	s_mov_b32 s0, 0x3fffff
	v_and_b32_e32 v5, 0x400000, v0
	v_and_or_b32 v1, v0, s0, v1
	v_cmp_ne_u32_e32 vcc, 0, v5
	v_cmp_ne_u32_e64 s[0:1], 0, v1
	s_and_b64 s[0:1], vcc, s[0:1]
	v_lshrrev_b32_e32 v4, 23, v0
	v_cndmask_b32_e64 v1, 0, 1, s[0:1]
	v_add_u32_e32 v4, v4, v1
; %bb.400:
	s_or_b64 exec, exec, s[2:3]
	s_mov_b64 s[0:1], 0
	global_store_byte v[2:3], v4, off
.LBB21_401:
	s_mov_b64 s[2:3], 0
.LBB21_402:
	s_and_b64 vcc, exec, s[2:3]
	s_cbranch_vccz .LBB21_406
; %bb.403:
	s_cmp_eq_u32 s11, 29
	s_mov_b64 s[0:1], -1
	s_cbranch_scc0 .LBB21_406
; %bb.404:
	v_trunc_f32_e32 v1, v0
	v_mul_f32_e32 v4, 0x2f800000, v1
	v_floor_f32_e32 v4, v4
	v_fmamk_f32 v1, v4, 0xcf800000, v1
	v_cvt_u32_f32_e32 v5, v4
	v_cvt_u32_f32_e32 v4, v1
	s_mov_b64 s[0:1], 0
	s_mov_b64 s[2:3], 0
	global_store_dwordx2 v[2:3], v[4:5], off
	s_branch .LBB21_407
.LBB21_405:
	s_mov_b64 s[4:5], 0
	s_mov_b64 s[2:3], -1
	s_mov_b64 s[0:1], s[48:49]
	s_branch .LBB21_464
.LBB21_406:
	s_mov_b64 s[2:3], 0
.LBB21_407:
	s_and_b64 vcc, exec, s[2:3]
	s_cbranch_vccz .LBB21_422
; %bb.408:
	s_cmp_lt_i32 s11, 27
	s_mov_b64 s[2:3], -1
	s_cbranch_scc1 .LBB21_414
; %bb.409:
	v_cvt_u32_f32_e32 v1, v0
	s_cmp_gt_i32 s11, 27
	s_cbranch_scc0 .LBB21_411
; %bb.410:
	s_mov_b64 s[2:3], 0
	global_store_dword v[2:3], v1, off
.LBB21_411:
	s_andn2_b64 vcc, exec, s[2:3]
	s_cbranch_vccnz .LBB21_413
; %bb.412:
	global_store_short v[2:3], v1, off
.LBB21_413:
	s_mov_b64 s[2:3], 0
.LBB21_414:
	s_andn2_b64 vcc, exec, s[2:3]
	s_cbranch_vccnz .LBB21_422
; %bb.415:
	v_and_b32_e32 v1, 0x7fffffff, v0
	s_mov_b32 s2, 0x43800000
	v_cmp_gt_u32_e32 vcc, s2, v1
	v_mov_b32_e32 v4, 0x80
	s_and_saveexec_b64 s[2:3], vcc
	s_cbranch_execz .LBB21_421
; %bb.416:
	s_mov_b32 s4, 0x3bffffff
	v_cmp_lt_u32_e32 vcc, s4, v1
	s_mov_b64 s[4:5], 0
                                        ; implicit-def: $vgpr1
	s_and_saveexec_b64 s[6:7], vcc
	s_xor_b64 s[6:7], exec, s[6:7]
	s_cbranch_execz .LBB21_1007
; %bb.417:
	v_bfe_u32 v1, v0, 20, 1
	s_mov_b32 s8, 0x487ffff
	v_add3_u32 v1, v0, v1, s8
	s_mov_b64 s[4:5], exec
	v_lshrrev_b32_e32 v1, 20, v1
	s_andn2_saveexec_b64 s[6:7], s[6:7]
	s_cbranch_execnz .LBB21_1008
.LBB21_418:
	s_or_b64 exec, exec, s[6:7]
	v_mov_b32_e32 v4, 0
	s_and_saveexec_b64 s[6:7], s[4:5]
.LBB21_419:
	v_lshrrev_b32_e32 v4, 24, v0
	s_movk_i32 s4, 0x80
	v_and_or_b32 v4, v4, s4, v1
.LBB21_420:
	s_or_b64 exec, exec, s[6:7]
.LBB21_421:
	s_or_b64 exec, exec, s[2:3]
	global_store_byte v[2:3], v4, off
.LBB21_422:
	s_mov_b64 s[4:5], 0
.LBB21_423:
	s_mov_b64 s[2:3], 0
	s_and_b64 vcc, exec, s[4:5]
	s_cbranch_vccz .LBB21_463
; %bb.424:
	s_cmp_gt_i32 s11, 22
	s_mov_b64 s[4:5], -1
	s_cbranch_scc0 .LBB21_456
; %bb.425:
	s_cmp_lt_i32 s11, 24
	s_cbranch_scc1 .LBB21_445
; %bb.426:
	s_cmp_gt_i32 s11, 24
	s_cbranch_scc0 .LBB21_434
; %bb.427:
	v_and_b32_e32 v1, 0x7fffffff, v0
	s_mov_b32 s4, 0x47800000
	v_cmp_gt_u32_e32 vcc, s4, v1
	v_mov_b32_e32 v4, 0x80
	s_and_saveexec_b64 s[4:5], vcc
	s_cbranch_execz .LBB21_433
; %bb.428:
	s_mov_b32 s6, 0x37ffffff
	v_cmp_lt_u32_e32 vcc, s6, v1
	s_mov_b64 s[6:7], 0
                                        ; implicit-def: $vgpr1
	s_and_saveexec_b64 s[8:9], vcc
	s_xor_b64 s[8:9], exec, s[8:9]
	s_cbranch_execz .LBB21_1011
; %bb.429:
	v_bfe_u32 v1, v0, 21, 1
	s_mov_b32 s12, 0x88fffff
	v_add3_u32 v1, v0, v1, s12
	s_mov_b64 s[6:7], exec
	v_lshrrev_b32_e32 v1, 21, v1
	s_andn2_saveexec_b64 s[8:9], s[8:9]
	s_cbranch_execnz .LBB21_1012
.LBB21_430:
	s_or_b64 exec, exec, s[8:9]
	v_mov_b32_e32 v4, 0
	s_and_saveexec_b64 s[8:9], s[6:7]
.LBB21_431:
	v_lshrrev_b32_e32 v4, 24, v0
	s_movk_i32 s6, 0x80
	v_and_or_b32 v4, v4, s6, v1
.LBB21_432:
	s_or_b64 exec, exec, s[8:9]
.LBB21_433:
	s_or_b64 exec, exec, s[4:5]
	s_mov_b64 s[4:5], 0
	global_store_byte v[2:3], v4, off
.LBB21_434:
	s_and_b64 vcc, exec, s[4:5]
	s_cbranch_vccz .LBB21_444
; %bb.435:
	v_and_b32_e32 v4, 0x7fffffff, v0
	s_mov_b32 s4, 0x43f00000
	v_cmp_gt_u32_e32 vcc, s4, v4
                                        ; implicit-def: $vgpr1
	s_and_saveexec_b64 s[4:5], vcc
	s_xor_b64 s[4:5], exec, s[4:5]
	s_cbranch_execz .LBB21_441
; %bb.436:
	s_mov_b32 s6, 0x3c7fffff
	v_cmp_lt_u32_e32 vcc, s6, v4
                                        ; implicit-def: $vgpr1
	s_and_saveexec_b64 s[6:7], vcc
	s_xor_b64 s[6:7], exec, s[6:7]
; %bb.437:
	v_bfe_u32 v1, v0, 20, 1
	s_mov_b32 s8, 0x407ffff
	v_add3_u32 v1, v0, v1, s8
	v_lshrrev_b32_e32 v4, 20, v1
	v_and_b32_e32 v1, 0xff00000, v1
	s_mov_b32 s8, 0x7f00000
	v_mov_b32_e32 v5, 0x7e
	v_cmp_ne_u32_e32 vcc, s8, v1
	s_nop 1
	v_cndmask_b32_e32 v1, v5, v4, vcc
; %bb.438:
	s_andn2_saveexec_b64 s[6:7], s[6:7]
; %bb.439:
	s_mov_b32 s8, 0x46800000
	v_add_f32_e64 v1, |v0|, s8
; %bb.440:
	s_or_b64 exec, exec, s[6:7]
                                        ; implicit-def: $vgpr4
.LBB21_441:
	s_andn2_saveexec_b64 s[4:5], s[4:5]
; %bb.442:
	s_mov_b32 s6, 0x7f800000
	v_mov_b32_e32 v1, 0x7e
	v_mov_b32_e32 v5, 0x7f
	v_cmp_lt_u32_e32 vcc, s6, v4
	s_nop 1
	v_cndmask_b32_e32 v1, v1, v5, vcc
; %bb.443:
	s_or_b64 exec, exec, s[4:5]
	v_lshrrev_b32_e32 v4, 24, v0
	s_movk_i32 s4, 0x80
	v_and_or_b32 v1, v4, s4, v1
	global_store_byte v[2:3], v1, off
.LBB21_444:
	s_mov_b64 s[4:5], 0
.LBB21_445:
	s_andn2_b64 vcc, exec, s[4:5]
	s_cbranch_vccnz .LBB21_455
; %bb.446:
	v_and_b32_e32 v4, 0x7fffffff, v0
	s_mov_b32 s4, 0x47800000
	v_cmp_gt_u32_e32 vcc, s4, v4
                                        ; implicit-def: $vgpr1
	s_and_saveexec_b64 s[4:5], vcc
	s_xor_b64 s[4:5], exec, s[4:5]
	s_cbranch_execz .LBB21_452
; %bb.447:
	s_mov_b32 s6, 0x387fffff
	v_cmp_lt_u32_e32 vcc, s6, v4
                                        ; implicit-def: $vgpr1
	s_and_saveexec_b64 s[6:7], vcc
	s_xor_b64 s[6:7], exec, s[6:7]
; %bb.448:
	v_bfe_u32 v1, v0, 21, 1
	s_mov_b32 s8, 0x80fffff
	v_add3_u32 v1, v0, v1, s8
	v_lshrrev_b32_e32 v1, 21, v1
; %bb.449:
	s_andn2_saveexec_b64 s[6:7], s[6:7]
; %bb.450:
	s_mov_b32 s8, 0x43000000
	v_add_f32_e64 v1, |v0|, s8
; %bb.451:
	s_or_b64 exec, exec, s[6:7]
                                        ; implicit-def: $vgpr4
.LBB21_452:
	s_andn2_saveexec_b64 s[4:5], s[4:5]
; %bb.453:
	s_mov_b32 s6, 0x7f800000
	v_mov_b32_e32 v1, 0x7c
	v_mov_b32_e32 v5, 0x7f
	v_cmp_lt_u32_e32 vcc, s6, v4
	s_nop 1
	v_cndmask_b32_e32 v1, v1, v5, vcc
; %bb.454:
	s_or_b64 exec, exec, s[4:5]
	v_lshrrev_b32_e32 v4, 24, v0
	s_movk_i32 s4, 0x80
	v_and_or_b32 v1, v4, s4, v1
	global_store_byte v[2:3], v1, off
.LBB21_455:
	s_mov_b64 s[4:5], 0
.LBB21_456:
	s_andn2_b64 vcc, exec, s[4:5]
	s_mov_b64 s[4:5], 0
	s_cbranch_vccnz .LBB21_464
; %bb.457:
	s_cmp_gt_i32 s11, 14
	s_mov_b64 s[6:7], -1
	s_cbranch_scc0 .LBB21_461
; %bb.458:
	s_cmp_eq_u32 s11, 15
	s_mov_b64 s[0:1], -1
	s_cbranch_scc0 .LBB21_460
; %bb.459:
	v_bfe_u32 v1, v0, 16, 1
	s_movk_i32 s0, 0x7fff
	v_add3_u32 v1, v0, v1, s0
	v_cmp_o_f32_e32 vcc, v0, v0
	v_mov_b32_e32 v4, 0x7fc0
	s_mov_b64 s[0:1], 0
	v_cndmask_b32_sdwa v1, v4, v1, vcc dst_sel:DWORD dst_unused:UNUSED_PAD src0_sel:DWORD src1_sel:WORD_1
	global_store_short v[2:3], v1, off
.LBB21_460:
	s_mov_b64 s[6:7], 0
.LBB21_461:
	s_and_b64 vcc, exec, s[6:7]
	s_cbranch_vccz .LBB21_464
; %bb.462:
	s_cmp_lg_u32 s11, 11
	s_cselect_b64 s[6:7], -1, 0
	s_andn2_b64 s[0:1], s[0:1], exec
	s_and_b64 s[6:7], s[6:7], exec
	s_mov_b64 s[4:5], -1
	s_or_b64 s[0:1], s[0:1], s[6:7]
	s_branch .LBB21_464
.LBB21_463:
	s_mov_b64 s[4:5], 0
.LBB21_464:
	s_and_b64 s[6:7], s[2:3], exec
	s_and_b64 s[2:3], s[4:5], exec
	s_andn2_b64 s[4:5], s[48:49], exec
	s_and_b64 s[0:1], s[0:1], exec
	s_or_b64 s[4:5], s[4:5], s[0:1]
.LBB21_465:
	s_or_b64 exec, exec, s[50:51]
	s_and_b64 s[0:1], s[2:3], exec
	s_andn2_b64 s[2:3], s[48:49], exec
	s_and_b64 s[4:5], s[4:5], exec
	s_and_b64 s[6:7], s[6:7], exec
	s_or_b64 s[48:49], s[2:3], s[4:5]
.LBB21_466:
	s_or_b64 exec, exec, s[46:47]
	s_and_b64 s[2:3], s[6:7], exec
	s_andn2_b64 s[4:5], s[42:43], exec
	s_and_b64 s[6:7], s[48:49], exec
	s_and_b64 s[0:1], s[0:1], exec
	s_or_b64 s[42:43], s[4:5], s[6:7]
.LBB21_467:
	s_or_b64 exec, exec, s[44:45]
	s_and_b64 s[44:45], s[0:1], exec
	s_andn2_b64 s[0:1], s[38:39], exec
	s_and_b64 s[4:5], s[42:43], exec
	s_and_b64 s[2:3], s[2:3], exec
	s_or_b64 s[38:39], s[0:1], s[4:5]
	s_or_b64 exec, exec, s[40:41]
	s_mov_b64 s[0:1], 0
	s_and_saveexec_b64 s[4:5], s[38:39]
	s_cbranch_execz .LBB21_134
.LBB21_468:
	s_mov_b64 s[0:1], exec
	s_andn2_b64 s[44:45], s[44:45], exec
	s_trap 2
	s_or_b64 exec, exec, s[4:5]
	s_and_saveexec_b64 s[4:5], s[44:45]
	s_xor_b64 s[4:5], exec, s[4:5]
	s_cbranch_execnz .LBB21_135
.LBB21_469:
	s_or_b64 exec, exec, s[4:5]
	s_and_saveexec_b64 s[4:5], s[2:3]
	s_xor_b64 s[2:3], exec, s[4:5]
	s_cbranch_execz .LBB21_507
.LBB21_470:
	s_sext_i32_i16 s6, s10
	s_cmp_lt_i32 s6, 5
	s_mov_b64 s[4:5], -1
	s_cbranch_scc1 .LBB21_491
; %bb.471:
	s_cmp_lt_i32 s6, 8
	s_cbranch_scc1 .LBB21_481
; %bb.472:
	s_cmp_lt_i32 s6, 9
	s_cbranch_scc1 .LBB21_478
; %bb.473:
	s_cmp_gt_i32 s6, 9
	s_cbranch_scc0 .LBB21_475
; %bb.474:
	v_mov_b32_e32 v6, 0
	v_cvt_f64_f32_e32 v[4:5], v0
	v_mov_b32_e32 v7, v6
	s_mov_b64 s[4:5], 0
	global_store_dwordx4 v[2:3], v[4:7], off
.LBB21_475:
	s_andn2_b64 vcc, exec, s[4:5]
	s_cbranch_vccnz .LBB21_477
; %bb.476:
	v_mov_b32_e32 v1, 0
	global_store_dwordx2 v[2:3], v[0:1], off
.LBB21_477:
	s_mov_b64 s[4:5], 0
.LBB21_478:
	s_andn2_b64 vcc, exec, s[4:5]
	s_cbranch_vccnz .LBB21_480
; %bb.479:
	v_cvt_f16_f32_e32 v1, v0
	global_store_dword v[2:3], v1, off
.LBB21_480:
	s_mov_b64 s[4:5], 0
.LBB21_481:
	s_andn2_b64 vcc, exec, s[4:5]
	s_cbranch_vccnz .LBB21_490
; %bb.482:
	s_sext_i32_i16 s6, s10
	s_cmp_lt_i32 s6, 6
	s_mov_b64 s[4:5], -1
	s_cbranch_scc1 .LBB21_488
; %bb.483:
	s_cmp_gt_i32 s6, 6
	s_cbranch_scc0 .LBB21_485
; %bb.484:
	v_cvt_f64_f32_e32 v[4:5], v0
	s_mov_b64 s[4:5], 0
	global_store_dwordx2 v[2:3], v[4:5], off
.LBB21_485:
	s_andn2_b64 vcc, exec, s[4:5]
	s_cbranch_vccnz .LBB21_487
; %bb.486:
	global_store_dword v[2:3], v0, off
.LBB21_487:
	s_mov_b64 s[4:5], 0
.LBB21_488:
	s_andn2_b64 vcc, exec, s[4:5]
	s_cbranch_vccnz .LBB21_490
; %bb.489:
	v_cvt_f16_f32_e32 v1, v0
	global_store_short v[2:3], v1, off
.LBB21_490:
	s_mov_b64 s[4:5], 0
.LBB21_491:
	s_andn2_b64 vcc, exec, s[4:5]
	s_cbranch_vccnz .LBB21_507
; %bb.492:
	s_sext_i32_i16 s6, s10
	s_cmp_lt_i32 s6, 2
	s_mov_b64 s[4:5], -1
	s_cbranch_scc1 .LBB21_502
; %bb.493:
	s_cmp_lt_i32 s6, 3
	s_cbranch_scc1 .LBB21_499
; %bb.494:
	s_cmp_gt_i32 s6, 3
	s_cbranch_scc0 .LBB21_496
; %bb.495:
	v_trunc_f32_e32 v1, v0
	s_mov_b32 s4, 0x2f800000
	v_mul_f32_e64 v4, |v1|, s4
	v_floor_f32_e32 v4, v4
	s_mov_b32 s4, 0xcf800000
	v_cvt_u32_f32_e32 v5, v4
	v_fma_f32 v4, v4, s4, |v1|
	v_cvt_u32_f32_e32 v4, v4
	v_ashrrev_i32_e32 v1, 31, v1
	v_xor_b32_e32 v5, v5, v1
	s_mov_b64 s[4:5], 0
	v_xor_b32_e32 v4, v4, v1
	v_sub_co_u32_e32 v4, vcc, v4, v1
	s_nop 1
	v_subb_co_u32_e32 v5, vcc, v5, v1, vcc
	global_store_dwordx2 v[2:3], v[4:5], off
.LBB21_496:
	s_andn2_b64 vcc, exec, s[4:5]
	s_cbranch_vccnz .LBB21_498
; %bb.497:
	v_cvt_i32_f32_e32 v1, v0
	global_store_dword v[2:3], v1, off
.LBB21_498:
	s_mov_b64 s[4:5], 0
.LBB21_499:
	s_andn2_b64 vcc, exec, s[4:5]
	s_cbranch_vccnz .LBB21_501
; %bb.500:
	v_cvt_i32_f32_e32 v1, v0
	global_store_short v[2:3], v1, off
.LBB21_501:
	s_mov_b64 s[4:5], 0
.LBB21_502:
	s_andn2_b64 vcc, exec, s[4:5]
	s_cbranch_vccnz .LBB21_507
; %bb.503:
	s_sext_i32_i16 s4, s10
	s_cmp_gt_i32 s4, 0
	s_mov_b64 s[4:5], -1
	s_cbranch_scc0 .LBB21_505
; %bb.504:
	v_cvt_i32_f32_e32 v1, v0
	s_mov_b64 s[4:5], 0
	global_store_byte v[2:3], v1, off
.LBB21_505:
	s_andn2_b64 vcc, exec, s[4:5]
	s_cbranch_vccnz .LBB21_507
; %bb.506:
	v_trunc_f32_e32 v0, v0
	s_mov_b32 s4, 0x2f800000
	v_mul_f32_e64 v1, |v0|, s4
	v_floor_f32_e32 v1, v1
	s_mov_b32 s4, 0xcf800000
	v_fma_f32 v1, v1, s4, |v0|
	v_cvt_u32_f32_e32 v1, v1
	v_ashrrev_i32_e32 v0, 31, v0
	v_xor_b32_e32 v1, v1, v0
	v_sub_u32_e32 v0, v1, v0
	global_store_byte v[2:3], v0, off
.LBB21_507:
	s_or_b64 exec, exec, s[2:3]
	s_and_b64 s[38:39], s[0:1], exec
                                        ; implicit-def: $vgpr21
                                        ; implicit-def: $vgpr23
                                        ; implicit-def: $vgpr25
.LBB21_508:
	s_or_saveexec_b64 s[36:37], s[36:37]
	s_mov_b64 s[0:1], 0
                                        ; implicit-def: $sgpr12
                                        ; implicit-def: $vgpr2_vgpr3
                                        ; implicit-def: $vgpr0
	s_xor_b64 exec, exec, s[36:37]
	s_cbranch_execz .LBB21_941
; %bb.509:
	s_getpc_b64 s[34:35]
	s_add_u32 s34, s34, _ZN2at6native6invokeIZZZNS0_12_GLOBAL__N_121bessel_y1_kernel_cudaERNS_18TensorIteratorBaseEENKUlvE_clEvENKUlvE0_clEvEUlfE_i15function_traitsIS7_EEENT1_11result_typeERKT_PrKPcPKT0_PKN3c1010ScalarTypeEi@rel32@lo+4
	s_addc_u32 s35, s35, _ZN2at6native6invokeIZZZNS0_12_GLOBAL__N_121bessel_y1_kernel_cudaERNS_18TensorIteratorBaseEENKUlvE_clEvENKUlvE0_clEvEUlfE_i15function_traitsIS7_EEENT1_11result_typeERKT_PrKPcPKT0_PKN3c1010ScalarTypeEi@rel32@hi+12
	v_mov_b32_e32 v0, s26
	v_mov_b32_e32 v1, s27
	v_mov_b32_e32 v2, s29
	v_mov_b32_e32 v3, v23
	v_mov_b32_e32 v4, v21
	v_add_u32_e32 v22, 0x80, v21
	v_add_u32_e32 v27, 0x100, v21
	s_swappc_b64 s[30:31], s[34:35]
	v_mov_b32_e32 v26, v0
	v_mov_b32_e32 v0, s26
	v_mov_b32_e32 v1, s27
	v_mov_b32_e32 v2, s29
	v_mov_b32_e32 v3, v23
	v_mov_b32_e32 v4, v22
	s_swappc_b64 s[30:31], s[34:35]
	v_mov_b32_e32 v24, v0
	v_mov_b32_e32 v0, s26
	v_mov_b32_e32 v1, s27
	v_mov_b32_e32 v2, s29
	v_mov_b32_e32 v3, v23
	v_mov_b32_e32 v4, v27
	;; [unrolled: 7-line block ×3, first 2 shown]
	s_swappc_b64 s[30:31], s[34:35]
	v_mul_lo_u32 v2, s28, v21
	v_ashrrev_i32_e32 v3, 31, v2
	s_and_b32 s12, s33, 0xff
	s_cmp_lt_i32 s12, 11
	v_lshl_add_u64 v[4:5], s[24:25], 0, v[2:3]
	s_cbranch_scc1 .LBB21_588
; %bb.510:
	s_and_b32 s10, 0xffff, s12
	s_mov_b64 s[2:3], -1
	s_mov_b64 s[4:5], 0
	s_cmp_gt_i32 s10, 25
	s_mov_b64 s[6:7], 0
	s_mov_b64 s[0:1], 0
	s_cbranch_scc0 .LBB21_543
; %bb.511:
	s_cmp_gt_i32 s10, 28
	s_cbranch_scc0 .LBB21_526
; %bb.512:
	s_cmp_gt_i32 s10, 43
	;; [unrolled: 3-line block ×3, first 2 shown]
	s_cbranch_scc0 .LBB21_516
; %bb.514:
	s_mov_b64 s[0:1], -1
	s_mov_b64 s[2:3], 0
	s_cmp_eq_u32 s10, 46
	s_cbranch_scc0 .LBB21_516
; %bb.515:
	v_bfe_u32 v1, v26, 16, 1
	s_movk_i32 s0, 0x7fff
	v_add3_u32 v1, v26, v1, s0
	v_cmp_o_f32_e32 vcc, v26, v26
	v_mov_b32_e32 v3, 0x7fc0
	s_mov_b64 s[0:1], 0
	v_cndmask_b32_sdwa v1, v3, v1, vcc dst_sel:DWORD dst_unused:UNUSED_PAD src0_sel:DWORD src1_sel:WORD_1
	global_store_dword v[4:5], v1, off
	s_mov_b64 s[6:7], -1
.LBB21_516:
	s_and_b64 vcc, exec, s[2:3]
	s_cbranch_vccz .LBB21_521
; %bb.517:
	s_cmp_eq_u32 s10, 44
	s_mov_b64 s[0:1], -1
	s_cbranch_scc0 .LBB21_521
; %bb.518:
	v_bfe_u32 v1, v26, 23, 8
	s_movk_i32 s0, 0xff
	v_cmp_ne_u32_e32 vcc, s0, v1
	v_mov_b32_e32 v3, 0xff
	s_and_saveexec_b64 s[2:3], vcc
; %bb.519:
	s_mov_b32 s0, 0x3fffff
	v_and_b32_e32 v6, 0x400000, v26
	v_and_or_b32 v1, v26, s0, v1
	v_cmp_ne_u32_e32 vcc, 0, v6
	v_cmp_ne_u32_e64 s[0:1], 0, v1
	s_and_b64 s[0:1], vcc, s[0:1]
	v_lshrrev_b32_e32 v3, 23, v26
	v_cndmask_b32_e64 v1, 0, 1, s[0:1]
	v_add_u32_e32 v3, v3, v1
; %bb.520:
	s_or_b64 exec, exec, s[2:3]
	s_mov_b64 s[0:1], 0
	s_mov_b64 s[6:7], -1
	global_store_byte v[4:5], v3, off
.LBB21_521:
	s_mov_b64 s[2:3], 0
.LBB21_522:
	s_and_b64 vcc, exec, s[2:3]
	s_cbranch_vccz .LBB21_525
; %bb.523:
	s_cmp_eq_u32 s10, 29
	s_mov_b64 s[0:1], -1
	s_cbranch_scc0 .LBB21_525
; %bb.524:
	v_trunc_f32_e32 v1, v26
	v_mul_f32_e32 v3, 0x2f800000, v1
	v_floor_f32_e32 v3, v3
	v_fmamk_f32 v1, v3, 0xcf800000, v1
	v_cvt_u32_f32_e32 v7, v3
	v_cvt_u32_f32_e32 v6, v1
	s_mov_b64 s[0:1], 0
	s_mov_b64 s[6:7], -1
	global_store_dwordx2 v[4:5], v[6:7], off
.LBB21_525:
	s_mov_b64 s[2:3], 0
.LBB21_526:
	s_and_b64 vcc, exec, s[2:3]
	s_cbranch_vccz .LBB21_542
; %bb.527:
	s_cmp_lt_i32 s10, 27
	s_mov_b64 s[2:3], -1
	s_cbranch_scc1 .LBB21_533
; %bb.528:
	v_cvt_u32_f32_e32 v1, v26
	s_cmp_gt_i32 s10, 27
	s_cbranch_scc0 .LBB21_530
; %bb.529:
	s_mov_b64 s[2:3], 0
	global_store_dword v[4:5], v1, off
.LBB21_530:
	s_andn2_b64 vcc, exec, s[2:3]
	s_cbranch_vccnz .LBB21_532
; %bb.531:
	global_store_short v[4:5], v1, off
.LBB21_532:
	s_mov_b64 s[2:3], 0
.LBB21_533:
	s_andn2_b64 vcc, exec, s[2:3]
	s_cbranch_vccnz .LBB21_541
; %bb.534:
	v_and_b32_e32 v1, 0x7fffffff, v26
	s_mov_b32 s2, 0x43800000
	v_cmp_gt_u32_e32 vcc, s2, v1
	v_mov_b32_e32 v3, 0x80
	s_and_saveexec_b64 s[2:3], vcc
	s_cbranch_execz .LBB21_540
; %bb.535:
	s_mov_b32 s6, 0x3bffffff
	v_cmp_lt_u32_e32 vcc, s6, v1
	s_mov_b64 s[6:7], 0
                                        ; implicit-def: $vgpr1
	s_and_saveexec_b64 s[8:9], vcc
	s_xor_b64 s[8:9], exec, s[8:9]
	s_cbranch_execz .LBB21_985
; %bb.536:
	v_bfe_u32 v1, v26, 20, 1
	s_mov_b32 s11, 0x487ffff
	v_add3_u32 v1, v26, v1, s11
	s_mov_b64 s[6:7], exec
	v_lshrrev_b32_e32 v1, 20, v1
	s_andn2_saveexec_b64 s[8:9], s[8:9]
	s_cbranch_execnz .LBB21_986
.LBB21_537:
	s_or_b64 exec, exec, s[8:9]
	v_mov_b32_e32 v3, 0
	s_and_saveexec_b64 s[8:9], s[6:7]
.LBB21_538:
	v_lshrrev_b32_e32 v3, 24, v26
	s_movk_i32 s6, 0x80
	v_and_or_b32 v3, v3, s6, v1
.LBB21_539:
	s_or_b64 exec, exec, s[8:9]
.LBB21_540:
	s_or_b64 exec, exec, s[2:3]
	global_store_byte v[4:5], v3, off
.LBB21_541:
	s_mov_b64 s[6:7], -1
.LBB21_542:
	s_mov_b64 s[2:3], 0
.LBB21_543:
	s_and_b64 vcc, exec, s[2:3]
	s_cbranch_vccz .LBB21_583
; %bb.544:
	s_cmp_gt_i32 s10, 22
	s_mov_b64 s[2:3], -1
	s_cbranch_scc0 .LBB21_576
; %bb.545:
	s_cmp_lt_i32 s10, 24
	s_cbranch_scc1 .LBB21_565
; %bb.546:
	s_cmp_gt_i32 s10, 24
	s_cbranch_scc0 .LBB21_554
; %bb.547:
	v_and_b32_e32 v1, 0x7fffffff, v26
	s_mov_b32 s2, 0x47800000
	v_cmp_gt_u32_e32 vcc, s2, v1
	v_mov_b32_e32 v3, 0x80
	s_and_saveexec_b64 s[2:3], vcc
	s_cbranch_execz .LBB21_553
; %bb.548:
	s_mov_b32 s4, 0x37ffffff
	v_cmp_lt_u32_e32 vcc, s4, v1
	s_mov_b64 s[4:5], 0
                                        ; implicit-def: $vgpr1
	s_and_saveexec_b64 s[6:7], vcc
	s_xor_b64 s[6:7], exec, s[6:7]
	s_cbranch_execz .LBB21_988
; %bb.549:
	v_bfe_u32 v1, v26, 21, 1
	s_mov_b32 s8, 0x88fffff
	v_add3_u32 v1, v26, v1, s8
	s_mov_b64 s[4:5], exec
	v_lshrrev_b32_e32 v1, 21, v1
	s_andn2_saveexec_b64 s[6:7], s[6:7]
	s_cbranch_execnz .LBB21_989
.LBB21_550:
	s_or_b64 exec, exec, s[6:7]
	v_mov_b32_e32 v3, 0
	s_and_saveexec_b64 s[6:7], s[4:5]
.LBB21_551:
	v_lshrrev_b32_e32 v3, 24, v26
	s_movk_i32 s4, 0x80
	v_and_or_b32 v3, v3, s4, v1
.LBB21_552:
	s_or_b64 exec, exec, s[6:7]
.LBB21_553:
	s_or_b64 exec, exec, s[2:3]
	s_mov_b64 s[2:3], 0
	global_store_byte v[4:5], v3, off
.LBB21_554:
	s_and_b64 vcc, exec, s[2:3]
	s_cbranch_vccz .LBB21_564
; %bb.555:
	v_and_b32_e32 v3, 0x7fffffff, v26
	s_mov_b32 s2, 0x43f00000
	v_cmp_gt_u32_e32 vcc, s2, v3
                                        ; implicit-def: $vgpr1
	s_and_saveexec_b64 s[2:3], vcc
	s_xor_b64 s[2:3], exec, s[2:3]
	s_cbranch_execz .LBB21_561
; %bb.556:
	s_mov_b32 s4, 0x3c7fffff
	v_cmp_lt_u32_e32 vcc, s4, v3
                                        ; implicit-def: $vgpr1
	s_and_saveexec_b64 s[4:5], vcc
	s_xor_b64 s[4:5], exec, s[4:5]
; %bb.557:
	v_bfe_u32 v1, v26, 20, 1
	s_mov_b32 s6, 0x407ffff
	v_add3_u32 v1, v26, v1, s6
	v_lshrrev_b32_e32 v3, 20, v1
	v_and_b32_e32 v1, 0xff00000, v1
	s_mov_b32 s6, 0x7f00000
	v_mov_b32_e32 v6, 0x7e
	v_cmp_ne_u32_e32 vcc, s6, v1
	s_nop 1
	v_cndmask_b32_e32 v1, v6, v3, vcc
; %bb.558:
	s_andn2_saveexec_b64 s[4:5], s[4:5]
; %bb.559:
	s_mov_b32 s6, 0x46800000
	v_add_f32_e64 v1, |v26|, s6
; %bb.560:
	s_or_b64 exec, exec, s[4:5]
                                        ; implicit-def: $vgpr3
.LBB21_561:
	s_andn2_saveexec_b64 s[2:3], s[2:3]
; %bb.562:
	s_mov_b32 s4, 0x7f800000
	v_mov_b32_e32 v1, 0x7e
	v_mov_b32_e32 v6, 0x7f
	v_cmp_lt_u32_e32 vcc, s4, v3
	s_nop 1
	v_cndmask_b32_e32 v1, v1, v6, vcc
; %bb.563:
	s_or_b64 exec, exec, s[2:3]
	v_lshrrev_b32_e32 v3, 24, v26
	s_movk_i32 s2, 0x80
	v_and_or_b32 v1, v3, s2, v1
	global_store_byte v[4:5], v1, off
.LBB21_564:
	s_mov_b64 s[2:3], 0
.LBB21_565:
	s_andn2_b64 vcc, exec, s[2:3]
	s_cbranch_vccnz .LBB21_575
; %bb.566:
	v_and_b32_e32 v3, 0x7fffffff, v26
	s_mov_b32 s2, 0x47800000
	v_cmp_gt_u32_e32 vcc, s2, v3
                                        ; implicit-def: $vgpr1
	s_and_saveexec_b64 s[2:3], vcc
	s_xor_b64 s[2:3], exec, s[2:3]
	s_cbranch_execz .LBB21_572
; %bb.567:
	s_mov_b32 s4, 0x387fffff
	v_cmp_lt_u32_e32 vcc, s4, v3
                                        ; implicit-def: $vgpr1
	s_and_saveexec_b64 s[4:5], vcc
	s_xor_b64 s[4:5], exec, s[4:5]
; %bb.568:
	v_bfe_u32 v1, v26, 21, 1
	s_mov_b32 s6, 0x80fffff
	v_add3_u32 v1, v26, v1, s6
	v_lshrrev_b32_e32 v1, 21, v1
; %bb.569:
	s_andn2_saveexec_b64 s[4:5], s[4:5]
; %bb.570:
	s_mov_b32 s6, 0x43000000
	v_add_f32_e64 v1, |v26|, s6
; %bb.571:
	s_or_b64 exec, exec, s[4:5]
                                        ; implicit-def: $vgpr3
.LBB21_572:
	s_andn2_saveexec_b64 s[2:3], s[2:3]
; %bb.573:
	s_mov_b32 s4, 0x7f800000
	v_mov_b32_e32 v1, 0x7c
	v_mov_b32_e32 v6, 0x7f
	v_cmp_lt_u32_e32 vcc, s4, v3
	s_nop 1
	v_cndmask_b32_e32 v1, v1, v6, vcc
; %bb.574:
	s_or_b64 exec, exec, s[2:3]
	v_lshrrev_b32_e32 v3, 24, v26
	s_movk_i32 s2, 0x80
	v_and_or_b32 v1, v3, s2, v1
	global_store_byte v[4:5], v1, off
.LBB21_575:
	s_mov_b64 s[2:3], 0
	s_mov_b64 s[6:7], -1
.LBB21_576:
	s_andn2_b64 vcc, exec, s[2:3]
	s_mov_b64 s[4:5], 0
	s_cbranch_vccnz .LBB21_583
; %bb.577:
	s_cmp_gt_i32 s10, 14
	s_mov_b64 s[2:3], -1
	s_cbranch_scc0 .LBB21_581
; %bb.578:
	s_cmp_eq_u32 s10, 15
	s_mov_b64 s[0:1], -1
	s_cbranch_scc0 .LBB21_580
; %bb.579:
	v_bfe_u32 v1, v26, 16, 1
	s_movk_i32 s0, 0x7fff
	v_add3_u32 v1, v26, v1, s0
	v_cmp_o_f32_e32 vcc, v26, v26
	v_mov_b32_e32 v3, 0x7fc0
	s_mov_b64 s[0:1], 0
	v_cndmask_b32_sdwa v1, v3, v1, vcc dst_sel:DWORD dst_unused:UNUSED_PAD src0_sel:DWORD src1_sel:WORD_1
	global_store_short v[4:5], v1, off
	s_mov_b64 s[6:7], -1
.LBB21_580:
	s_mov_b64 s[2:3], 0
.LBB21_581:
	s_and_b64 vcc, exec, s[2:3]
	s_cbranch_vccz .LBB21_583
; %bb.582:
	s_cmp_lg_u32 s10, 11
	s_mov_b64 s[4:5], -1
	s_cselect_b64 s[0:1], -1, 0
.LBB21_583:
	s_and_b64 vcc, exec, s[0:1]
	s_mov_b64 s[2:3], s[38:39]
	s_cbranch_vccnz .LBB21_987
; %bb.584:
	s_andn2_b64 vcc, exec, s[4:5]
	s_cbranch_vccnz .LBB21_586
.LBB21_585:
	v_cmp_neq_f32_e32 vcc, 0, v26
	s_mov_b64 s[6:7], -1
	s_nop 0
	v_cndmask_b32_e64 v1, 0, 1, vcc
	global_store_byte v[4:5], v1, off
.LBB21_586:
.LBB21_587:
	s_andn2_b64 vcc, exec, s[6:7]
	s_cbranch_vccz .LBB21_627
	s_branch .LBB21_939
.LBB21_588:
	s_mov_b64 s[6:7], 0
	s_mov_b64 s[2:3], s[38:39]
	s_cbranch_execz .LBB21_587
; %bb.589:
	s_and_b32 s4, 0xffff, s12
	s_cmp_lt_i32 s4, 5
	s_mov_b64 s[0:1], -1
	s_cbranch_scc1 .LBB21_610
; %bb.590:
	s_cmp_lt_i32 s4, 8
	s_cbranch_scc1 .LBB21_600
; %bb.591:
	s_cmp_lt_i32 s4, 9
	s_cbranch_scc1 .LBB21_597
; %bb.592:
	s_cmp_gt_i32 s4, 9
	s_cbranch_scc0 .LBB21_594
; %bb.593:
	v_mov_b32_e32 v8, 0
	v_cvt_f64_f32_e32 v[6:7], v26
	v_mov_b32_e32 v9, v8
	global_store_dwordx4 v[4:5], v[6:9], off
	s_mov_b64 s[0:1], 0
.LBB21_594:
	s_andn2_b64 vcc, exec, s[0:1]
	s_cbranch_vccnz .LBB21_596
; %bb.595:
	v_mov_b32_e32 v27, 0
	global_store_dwordx2 v[4:5], v[26:27], off
.LBB21_596:
	s_mov_b64 s[0:1], 0
.LBB21_597:
	s_andn2_b64 vcc, exec, s[0:1]
	s_cbranch_vccnz .LBB21_599
; %bb.598:
	v_cvt_f16_f32_e32 v1, v26
	global_store_dword v[4:5], v1, off
.LBB21_599:
	s_mov_b64 s[0:1], 0
.LBB21_600:
	s_andn2_b64 vcc, exec, s[0:1]
	s_cbranch_vccnz .LBB21_609
; %bb.601:
	s_cmp_lt_i32 s4, 6
	s_mov_b64 s[0:1], -1
	s_cbranch_scc1 .LBB21_607
; %bb.602:
	s_cmp_gt_i32 s4, 6
	s_cbranch_scc0 .LBB21_604
; %bb.603:
	v_cvt_f64_f32_e32 v[6:7], v26
	global_store_dwordx2 v[4:5], v[6:7], off
	s_mov_b64 s[0:1], 0
.LBB21_604:
	s_andn2_b64 vcc, exec, s[0:1]
	s_cbranch_vccnz .LBB21_606
; %bb.605:
	global_store_dword v[4:5], v26, off
.LBB21_606:
	s_mov_b64 s[0:1], 0
.LBB21_607:
	s_andn2_b64 vcc, exec, s[0:1]
	s_cbranch_vccnz .LBB21_609
; %bb.608:
	v_cvt_f16_f32_e32 v1, v26
	global_store_short v[4:5], v1, off
.LBB21_609:
	s_mov_b64 s[0:1], 0
.LBB21_610:
	s_andn2_b64 vcc, exec, s[0:1]
	s_cbranch_vccnz .LBB21_626
; %bb.611:
	s_cmp_lt_i32 s4, 2
	s_mov_b64 s[0:1], -1
	s_cbranch_scc1 .LBB21_621
; %bb.612:
	s_cmp_lt_i32 s4, 3
	s_cbranch_scc1 .LBB21_618
; %bb.613:
	s_cmp_gt_i32 s4, 3
	s_cbranch_scc0 .LBB21_615
; %bb.614:
	v_trunc_f32_e32 v1, v26
	s_mov_b32 s0, 0x2f800000
	v_mul_f32_e64 v3, |v1|, s0
	v_floor_f32_e32 v3, v3
	s_mov_b32 s0, 0xcf800000
	v_cvt_u32_f32_e32 v6, v3
	v_fma_f32 v3, v3, s0, |v1|
	v_cvt_u32_f32_e32 v3, v3
	v_ashrrev_i32_e32 v1, 31, v1
	v_xor_b32_e32 v7, v6, v1
	s_mov_b64 s[0:1], 0
	v_xor_b32_e32 v3, v3, v1
	v_sub_co_u32_e32 v6, vcc, v3, v1
	s_nop 1
	v_subb_co_u32_e32 v7, vcc, v7, v1, vcc
	global_store_dwordx2 v[4:5], v[6:7], off
.LBB21_615:
	s_andn2_b64 vcc, exec, s[0:1]
	s_cbranch_vccnz .LBB21_617
; %bb.616:
	v_cvt_i32_f32_e32 v1, v26
	global_store_dword v[4:5], v1, off
.LBB21_617:
	s_mov_b64 s[0:1], 0
.LBB21_618:
	s_andn2_b64 vcc, exec, s[0:1]
	s_cbranch_vccnz .LBB21_620
; %bb.619:
	v_cvt_i32_f32_e32 v1, v26
	global_store_short v[4:5], v1, off
.LBB21_620:
	s_mov_b64 s[0:1], 0
.LBB21_621:
	s_andn2_b64 vcc, exec, s[0:1]
	s_cbranch_vccnz .LBB21_626
; %bb.622:
	s_cmp_gt_i32 s4, 0
	s_mov_b64 s[0:1], -1
	s_cbranch_scc0 .LBB21_624
; %bb.623:
	v_cvt_i32_f32_e32 v1, v26
	s_mov_b64 s[0:1], 0
	global_store_byte v[4:5], v1, off
.LBB21_624:
	s_andn2_b64 vcc, exec, s[0:1]
	s_cbranch_vccnz .LBB21_626
; %bb.625:
	v_trunc_f32_e32 v1, v26
	s_mov_b32 s0, 0x2f800000
	v_mul_f32_e64 v3, |v1|, s0
	v_floor_f32_e32 v3, v3
	s_mov_b32 s0, 0xcf800000
	v_fma_f32 v3, v3, s0, |v1|
	v_cvt_u32_f32_e32 v3, v3
	v_ashrrev_i32_e32 v1, 31, v1
	v_xor_b32_e32 v3, v3, v1
	v_sub_u32_e32 v1, v3, v1
	global_store_byte v[4:5], v1, off
.LBB21_626:
.LBB21_627:
	s_lshl_b32 s13, s28, 7
	v_add_u32_e32 v2, s13, v2
	v_ashrrev_i32_e32 v3, 31, v2
	s_cmp_lt_i32 s12, 11
	v_lshl_add_u64 v[4:5], s[24:25], 0, v[2:3]
	s_cbranch_scc1 .LBB21_706
; %bb.628:
	s_and_b32 s14, 0xffff, s12
	s_mov_b64 s[8:9], -1
	s_mov_b64 s[4:5], 0
	s_cmp_gt_i32 s14, 25
	s_mov_b64 s[6:7], 0
	s_mov_b64 s[0:1], 0
	s_cbranch_scc0 .LBB21_661
; %bb.629:
	s_cmp_gt_i32 s14, 28
	s_cbranch_scc0 .LBB21_644
; %bb.630:
	s_cmp_gt_i32 s14, 43
	;; [unrolled: 3-line block ×3, first 2 shown]
	s_cbranch_scc0 .LBB21_634
; %bb.632:
	s_mov_b64 s[0:1], -1
	s_mov_b64 s[8:9], 0
	s_cmp_eq_u32 s14, 46
	s_cbranch_scc0 .LBB21_634
; %bb.633:
	v_bfe_u32 v1, v24, 16, 1
	s_movk_i32 s0, 0x7fff
	v_add3_u32 v1, v24, v1, s0
	v_cmp_o_f32_e32 vcc, v24, v24
	v_mov_b32_e32 v3, 0x7fc0
	s_mov_b64 s[0:1], 0
	v_cndmask_b32_sdwa v1, v3, v1, vcc dst_sel:DWORD dst_unused:UNUSED_PAD src0_sel:DWORD src1_sel:WORD_1
	global_store_dword v[4:5], v1, off
	s_mov_b64 s[6:7], -1
.LBB21_634:
	s_and_b64 vcc, exec, s[8:9]
	s_cbranch_vccz .LBB21_639
; %bb.635:
	s_cmp_eq_u32 s14, 44
	s_mov_b64 s[0:1], -1
	s_cbranch_scc0 .LBB21_639
; %bb.636:
	v_bfe_u32 v1, v24, 23, 8
	s_movk_i32 s0, 0xff
	v_cmp_ne_u32_e32 vcc, s0, v1
	v_mov_b32_e32 v3, 0xff
	s_and_saveexec_b64 s[6:7], vcc
; %bb.637:
	s_mov_b32 s0, 0x3fffff
	v_and_b32_e32 v6, 0x400000, v24
	v_and_or_b32 v1, v24, s0, v1
	v_cmp_ne_u32_e32 vcc, 0, v6
	v_cmp_ne_u32_e64 s[0:1], 0, v1
	s_and_b64 s[0:1], vcc, s[0:1]
	v_lshrrev_b32_e32 v3, 23, v24
	v_cndmask_b32_e64 v1, 0, 1, s[0:1]
	v_add_u32_e32 v3, v3, v1
; %bb.638:
	s_or_b64 exec, exec, s[6:7]
	s_mov_b64 s[0:1], 0
	s_mov_b64 s[6:7], -1
	global_store_byte v[4:5], v3, off
.LBB21_639:
	s_mov_b64 s[8:9], 0
.LBB21_640:
	s_and_b64 vcc, exec, s[8:9]
	s_cbranch_vccz .LBB21_643
; %bb.641:
	s_cmp_eq_u32 s14, 29
	s_mov_b64 s[0:1], -1
	s_cbranch_scc0 .LBB21_643
; %bb.642:
	v_trunc_f32_e32 v1, v24
	v_mul_f32_e32 v3, 0x2f800000, v1
	v_floor_f32_e32 v3, v3
	v_fmamk_f32 v1, v3, 0xcf800000, v1
	v_cvt_u32_f32_e32 v7, v3
	v_cvt_u32_f32_e32 v6, v1
	s_mov_b64 s[0:1], 0
	s_mov_b64 s[6:7], -1
	global_store_dwordx2 v[4:5], v[6:7], off
.LBB21_643:
	s_mov_b64 s[8:9], 0
.LBB21_644:
	s_and_b64 vcc, exec, s[8:9]
	s_cbranch_vccz .LBB21_660
; %bb.645:
	s_cmp_lt_i32 s14, 27
	s_mov_b64 s[6:7], -1
	s_cbranch_scc1 .LBB21_651
; %bb.646:
	v_cvt_u32_f32_e32 v1, v24
	s_cmp_gt_i32 s14, 27
	s_cbranch_scc0 .LBB21_648
; %bb.647:
	s_mov_b64 s[6:7], 0
	global_store_dword v[4:5], v1, off
.LBB21_648:
	s_andn2_b64 vcc, exec, s[6:7]
	s_cbranch_vccnz .LBB21_650
; %bb.649:
	global_store_short v[4:5], v1, off
.LBB21_650:
	s_mov_b64 s[6:7], 0
.LBB21_651:
	s_andn2_b64 vcc, exec, s[6:7]
	s_cbranch_vccnz .LBB21_659
; %bb.652:
	v_and_b32_e32 v1, 0x7fffffff, v24
	s_mov_b32 s6, 0x43800000
	v_cmp_gt_u32_e32 vcc, s6, v1
	v_mov_b32_e32 v3, 0x80
	s_and_saveexec_b64 s[6:7], vcc
	s_cbranch_execz .LBB21_658
; %bb.653:
	s_mov_b32 s8, 0x3bffffff
	v_cmp_lt_u32_e32 vcc, s8, v1
	s_mov_b64 s[8:9], 0
                                        ; implicit-def: $vgpr1
	s_and_saveexec_b64 s[10:11], vcc
	s_xor_b64 s[10:11], exec, s[10:11]
	s_cbranch_execz .LBB21_990
; %bb.654:
	v_bfe_u32 v1, v24, 20, 1
	s_mov_b32 s15, 0x487ffff
	v_add3_u32 v1, v24, v1, s15
	s_mov_b64 s[8:9], exec
	v_lshrrev_b32_e32 v1, 20, v1
	s_andn2_saveexec_b64 s[10:11], s[10:11]
	s_cbranch_execnz .LBB21_991
.LBB21_655:
	s_or_b64 exec, exec, s[10:11]
	v_mov_b32_e32 v3, 0
	s_and_saveexec_b64 s[10:11], s[8:9]
.LBB21_656:
	v_lshrrev_b32_e32 v3, 24, v24
	s_movk_i32 s8, 0x80
	v_and_or_b32 v3, v3, s8, v1
.LBB21_657:
	s_or_b64 exec, exec, s[10:11]
.LBB21_658:
	s_or_b64 exec, exec, s[6:7]
	global_store_byte v[4:5], v3, off
.LBB21_659:
	s_mov_b64 s[6:7], -1
.LBB21_660:
	s_mov_b64 s[8:9], 0
.LBB21_661:
	s_and_b64 vcc, exec, s[8:9]
	s_cbranch_vccz .LBB21_701
; %bb.662:
	s_cmp_gt_i32 s14, 22
	s_mov_b64 s[4:5], -1
	s_cbranch_scc0 .LBB21_694
; %bb.663:
	s_cmp_lt_i32 s14, 24
	s_cbranch_scc1 .LBB21_683
; %bb.664:
	s_cmp_gt_i32 s14, 24
	s_cbranch_scc0 .LBB21_672
; %bb.665:
	v_and_b32_e32 v1, 0x7fffffff, v24
	s_mov_b32 s4, 0x47800000
	v_cmp_gt_u32_e32 vcc, s4, v1
	v_mov_b32_e32 v3, 0x80
	s_and_saveexec_b64 s[4:5], vcc
	s_cbranch_execz .LBB21_671
; %bb.666:
	s_mov_b32 s6, 0x37ffffff
	v_cmp_lt_u32_e32 vcc, s6, v1
	s_mov_b64 s[6:7], 0
                                        ; implicit-def: $vgpr1
	s_and_saveexec_b64 s[8:9], vcc
	s_xor_b64 s[8:9], exec, s[8:9]
	s_cbranch_execz .LBB21_993
; %bb.667:
	v_bfe_u32 v1, v24, 21, 1
	s_mov_b32 s10, 0x88fffff
	v_add3_u32 v1, v24, v1, s10
	s_mov_b64 s[6:7], exec
	v_lshrrev_b32_e32 v1, 21, v1
	s_andn2_saveexec_b64 s[8:9], s[8:9]
	s_cbranch_execnz .LBB21_994
.LBB21_668:
	s_or_b64 exec, exec, s[8:9]
	v_mov_b32_e32 v3, 0
	s_and_saveexec_b64 s[8:9], s[6:7]
.LBB21_669:
	v_lshrrev_b32_e32 v3, 24, v24
	s_movk_i32 s6, 0x80
	v_and_or_b32 v3, v3, s6, v1
.LBB21_670:
	s_or_b64 exec, exec, s[8:9]
.LBB21_671:
	s_or_b64 exec, exec, s[4:5]
	s_mov_b64 s[4:5], 0
	global_store_byte v[4:5], v3, off
.LBB21_672:
	s_and_b64 vcc, exec, s[4:5]
	s_cbranch_vccz .LBB21_682
; %bb.673:
	v_and_b32_e32 v3, 0x7fffffff, v24
	s_mov_b32 s4, 0x43f00000
	v_cmp_gt_u32_e32 vcc, s4, v3
                                        ; implicit-def: $vgpr1
	s_and_saveexec_b64 s[4:5], vcc
	s_xor_b64 s[4:5], exec, s[4:5]
	s_cbranch_execz .LBB21_679
; %bb.674:
	s_mov_b32 s6, 0x3c7fffff
	v_cmp_lt_u32_e32 vcc, s6, v3
                                        ; implicit-def: $vgpr1
	s_and_saveexec_b64 s[6:7], vcc
	s_xor_b64 s[6:7], exec, s[6:7]
; %bb.675:
	v_bfe_u32 v1, v24, 20, 1
	s_mov_b32 s8, 0x407ffff
	v_add3_u32 v1, v24, v1, s8
	v_lshrrev_b32_e32 v3, 20, v1
	v_and_b32_e32 v1, 0xff00000, v1
	s_mov_b32 s8, 0x7f00000
	v_mov_b32_e32 v6, 0x7e
	v_cmp_ne_u32_e32 vcc, s8, v1
	s_nop 1
	v_cndmask_b32_e32 v1, v6, v3, vcc
; %bb.676:
	s_andn2_saveexec_b64 s[6:7], s[6:7]
; %bb.677:
	s_mov_b32 s8, 0x46800000
	v_add_f32_e64 v1, |v24|, s8
; %bb.678:
	s_or_b64 exec, exec, s[6:7]
                                        ; implicit-def: $vgpr3
.LBB21_679:
	s_andn2_saveexec_b64 s[4:5], s[4:5]
; %bb.680:
	s_mov_b32 s6, 0x7f800000
	v_mov_b32_e32 v1, 0x7e
	v_mov_b32_e32 v6, 0x7f
	v_cmp_lt_u32_e32 vcc, s6, v3
	s_nop 1
	v_cndmask_b32_e32 v1, v1, v6, vcc
; %bb.681:
	s_or_b64 exec, exec, s[4:5]
	v_lshrrev_b32_e32 v3, 24, v24
	s_movk_i32 s4, 0x80
	v_and_or_b32 v1, v3, s4, v1
	global_store_byte v[4:5], v1, off
.LBB21_682:
	s_mov_b64 s[4:5], 0
.LBB21_683:
	s_andn2_b64 vcc, exec, s[4:5]
	s_cbranch_vccnz .LBB21_693
; %bb.684:
	v_and_b32_e32 v3, 0x7fffffff, v24
	s_mov_b32 s4, 0x47800000
	v_cmp_gt_u32_e32 vcc, s4, v3
                                        ; implicit-def: $vgpr1
	s_and_saveexec_b64 s[4:5], vcc
	s_xor_b64 s[4:5], exec, s[4:5]
	s_cbranch_execz .LBB21_690
; %bb.685:
	s_mov_b32 s6, 0x387fffff
	v_cmp_lt_u32_e32 vcc, s6, v3
                                        ; implicit-def: $vgpr1
	s_and_saveexec_b64 s[6:7], vcc
	s_xor_b64 s[6:7], exec, s[6:7]
; %bb.686:
	v_bfe_u32 v1, v24, 21, 1
	s_mov_b32 s8, 0x80fffff
	v_add3_u32 v1, v24, v1, s8
	v_lshrrev_b32_e32 v1, 21, v1
; %bb.687:
	s_andn2_saveexec_b64 s[6:7], s[6:7]
; %bb.688:
	s_mov_b32 s8, 0x43000000
	v_add_f32_e64 v1, |v24|, s8
; %bb.689:
	s_or_b64 exec, exec, s[6:7]
                                        ; implicit-def: $vgpr3
.LBB21_690:
	s_andn2_saveexec_b64 s[4:5], s[4:5]
; %bb.691:
	s_mov_b32 s6, 0x7f800000
	v_mov_b32_e32 v1, 0x7c
	v_mov_b32_e32 v6, 0x7f
	v_cmp_lt_u32_e32 vcc, s6, v3
	s_nop 1
	v_cndmask_b32_e32 v1, v1, v6, vcc
; %bb.692:
	s_or_b64 exec, exec, s[4:5]
	v_lshrrev_b32_e32 v3, 24, v24
	s_movk_i32 s4, 0x80
	v_and_or_b32 v1, v3, s4, v1
	global_store_byte v[4:5], v1, off
.LBB21_693:
	s_mov_b64 s[4:5], 0
	s_mov_b64 s[6:7], -1
.LBB21_694:
	s_andn2_b64 vcc, exec, s[4:5]
	s_mov_b64 s[4:5], 0
	s_cbranch_vccnz .LBB21_701
; %bb.695:
	s_cmp_gt_i32 s14, 14
	s_mov_b64 s[8:9], -1
	s_cbranch_scc0 .LBB21_699
; %bb.696:
	s_cmp_eq_u32 s14, 15
	s_mov_b64 s[0:1], -1
	s_cbranch_scc0 .LBB21_698
; %bb.697:
	v_bfe_u32 v1, v24, 16, 1
	s_movk_i32 s0, 0x7fff
	v_add3_u32 v1, v24, v1, s0
	v_cmp_o_f32_e32 vcc, v24, v24
	v_mov_b32_e32 v3, 0x7fc0
	s_mov_b64 s[0:1], 0
	v_cndmask_b32_sdwa v1, v3, v1, vcc dst_sel:DWORD dst_unused:UNUSED_PAD src0_sel:DWORD src1_sel:WORD_1
	global_store_short v[4:5], v1, off
	s_mov_b64 s[6:7], -1
.LBB21_698:
	s_mov_b64 s[8:9], 0
.LBB21_699:
	s_and_b64 vcc, exec, s[8:9]
	s_cbranch_vccz .LBB21_701
; %bb.700:
	s_cmp_lg_u32 s14, 11
	s_mov_b64 s[4:5], -1
	s_cselect_b64 s[0:1], -1, 0
.LBB21_701:
	s_and_b64 vcc, exec, s[0:1]
	s_cbranch_vccnz .LBB21_992
; %bb.702:
	s_andn2_b64 vcc, exec, s[4:5]
	s_cbranch_vccnz .LBB21_704
.LBB21_703:
	v_cmp_neq_f32_e32 vcc, 0, v24
	s_mov_b64 s[6:7], -1
	s_nop 0
	v_cndmask_b32_e64 v1, 0, 1, vcc
	global_store_byte v[4:5], v1, off
.LBB21_704:
.LBB21_705:
	s_andn2_b64 vcc, exec, s[6:7]
	s_cbranch_vccz .LBB21_745
	s_branch .LBB21_939
.LBB21_706:
	s_mov_b64 s[6:7], 0
	s_cbranch_execz .LBB21_705
; %bb.707:
	s_and_b32 s4, 0xffff, s12
	s_cmp_lt_i32 s4, 5
	s_mov_b64 s[0:1], -1
	s_cbranch_scc1 .LBB21_728
; %bb.708:
	s_cmp_lt_i32 s4, 8
	s_cbranch_scc1 .LBB21_718
; %bb.709:
	s_cmp_lt_i32 s4, 9
	s_cbranch_scc1 .LBB21_715
; %bb.710:
	s_cmp_gt_i32 s4, 9
	s_cbranch_scc0 .LBB21_712
; %bb.711:
	v_mov_b32_e32 v8, 0
	v_cvt_f64_f32_e32 v[6:7], v24
	v_mov_b32_e32 v9, v8
	global_store_dwordx4 v[4:5], v[6:9], off
	s_mov_b64 s[0:1], 0
.LBB21_712:
	s_andn2_b64 vcc, exec, s[0:1]
	s_cbranch_vccnz .LBB21_714
; %bb.713:
	v_mov_b32_e32 v25, 0
	global_store_dwordx2 v[4:5], v[24:25], off
.LBB21_714:
	s_mov_b64 s[0:1], 0
.LBB21_715:
	s_andn2_b64 vcc, exec, s[0:1]
	s_cbranch_vccnz .LBB21_717
; %bb.716:
	v_cvt_f16_f32_e32 v1, v24
	global_store_dword v[4:5], v1, off
.LBB21_717:
	s_mov_b64 s[0:1], 0
.LBB21_718:
	s_andn2_b64 vcc, exec, s[0:1]
	s_cbranch_vccnz .LBB21_727
; %bb.719:
	s_cmp_lt_i32 s4, 6
	s_mov_b64 s[0:1], -1
	s_cbranch_scc1 .LBB21_725
; %bb.720:
	s_cmp_gt_i32 s4, 6
	s_cbranch_scc0 .LBB21_722
; %bb.721:
	v_cvt_f64_f32_e32 v[6:7], v24
	global_store_dwordx2 v[4:5], v[6:7], off
	s_mov_b64 s[0:1], 0
.LBB21_722:
	s_andn2_b64 vcc, exec, s[0:1]
	s_cbranch_vccnz .LBB21_724
; %bb.723:
	global_store_dword v[4:5], v24, off
.LBB21_724:
	s_mov_b64 s[0:1], 0
.LBB21_725:
	s_andn2_b64 vcc, exec, s[0:1]
	s_cbranch_vccnz .LBB21_727
; %bb.726:
	v_cvt_f16_f32_e32 v1, v24
	global_store_short v[4:5], v1, off
.LBB21_727:
	s_mov_b64 s[0:1], 0
.LBB21_728:
	s_andn2_b64 vcc, exec, s[0:1]
	s_cbranch_vccnz .LBB21_744
; %bb.729:
	s_cmp_lt_i32 s4, 2
	s_mov_b64 s[0:1], -1
	s_cbranch_scc1 .LBB21_739
; %bb.730:
	s_cmp_lt_i32 s4, 3
	s_cbranch_scc1 .LBB21_736
; %bb.731:
	s_cmp_gt_i32 s4, 3
	s_cbranch_scc0 .LBB21_733
; %bb.732:
	v_trunc_f32_e32 v1, v24
	s_mov_b32 s0, 0x2f800000
	v_mul_f32_e64 v3, |v1|, s0
	v_floor_f32_e32 v3, v3
	s_mov_b32 s0, 0xcf800000
	v_cvt_u32_f32_e32 v6, v3
	v_fma_f32 v3, v3, s0, |v1|
	v_cvt_u32_f32_e32 v3, v3
	v_ashrrev_i32_e32 v1, 31, v1
	v_xor_b32_e32 v7, v6, v1
	s_mov_b64 s[0:1], 0
	v_xor_b32_e32 v3, v3, v1
	v_sub_co_u32_e32 v6, vcc, v3, v1
	s_nop 1
	v_subb_co_u32_e32 v7, vcc, v7, v1, vcc
	global_store_dwordx2 v[4:5], v[6:7], off
.LBB21_733:
	s_andn2_b64 vcc, exec, s[0:1]
	s_cbranch_vccnz .LBB21_735
; %bb.734:
	v_cvt_i32_f32_e32 v1, v24
	global_store_dword v[4:5], v1, off
.LBB21_735:
	s_mov_b64 s[0:1], 0
.LBB21_736:
	s_andn2_b64 vcc, exec, s[0:1]
	s_cbranch_vccnz .LBB21_738
; %bb.737:
	v_cvt_i32_f32_e32 v1, v24
	global_store_short v[4:5], v1, off
.LBB21_738:
	s_mov_b64 s[0:1], 0
.LBB21_739:
	s_andn2_b64 vcc, exec, s[0:1]
	s_cbranch_vccnz .LBB21_744
; %bb.740:
	s_cmp_gt_i32 s4, 0
	s_mov_b64 s[0:1], -1
	s_cbranch_scc0 .LBB21_742
; %bb.741:
	v_cvt_i32_f32_e32 v1, v24
	s_mov_b64 s[0:1], 0
	global_store_byte v[4:5], v1, off
.LBB21_742:
	s_andn2_b64 vcc, exec, s[0:1]
	s_cbranch_vccnz .LBB21_744
; %bb.743:
	v_trunc_f32_e32 v1, v24
	s_mov_b32 s0, 0x2f800000
	v_mul_f32_e64 v3, |v1|, s0
	v_floor_f32_e32 v3, v3
	s_mov_b32 s0, 0xcf800000
	v_fma_f32 v3, v3, s0, |v1|
	v_cvt_u32_f32_e32 v3, v3
	v_ashrrev_i32_e32 v1, 31, v1
	v_xor_b32_e32 v3, v3, v1
	v_sub_u32_e32 v1, v3, v1
	global_store_byte v[4:5], v1, off
.LBB21_744:
.LBB21_745:
	v_add_u32_e32 v2, s13, v2
	v_ashrrev_i32_e32 v3, 31, v2
	s_cmp_lt_i32 s12, 11
	v_lshl_add_u64 v[4:5], s[24:25], 0, v[2:3]
	s_cbranch_scc1 .LBB21_900
; %bb.746:
	s_and_b32 s14, 0xffff, s12
	s_mov_b64 s[8:9], -1
	s_mov_b64 s[4:5], 0
	s_cmp_gt_i32 s14, 25
	s_mov_b64 s[6:7], 0
	s_mov_b64 s[0:1], 0
	s_cbranch_scc0 .LBB21_779
; %bb.747:
	s_cmp_gt_i32 s14, 28
	s_cbranch_scc0 .LBB21_762
; %bb.748:
	s_cmp_gt_i32 s14, 43
	s_cbranch_scc0 .LBB21_758
; %bb.749:
	s_cmp_gt_i32 s14, 45
	s_cbranch_scc0 .LBB21_752
; %bb.750:
	s_mov_b64 s[0:1], -1
	s_mov_b64 s[8:9], 0
	s_cmp_eq_u32 s14, 46
	s_cbranch_scc0 .LBB21_752
; %bb.751:
	v_bfe_u32 v1, v22, 16, 1
	s_movk_i32 s0, 0x7fff
	v_add3_u32 v1, v22, v1, s0
	v_cmp_o_f32_e32 vcc, v22, v22
	v_mov_b32_e32 v3, 0x7fc0
	s_mov_b64 s[0:1], 0
	v_cndmask_b32_sdwa v1, v3, v1, vcc dst_sel:DWORD dst_unused:UNUSED_PAD src0_sel:DWORD src1_sel:WORD_1
	global_store_dword v[4:5], v1, off
	s_mov_b64 s[6:7], -1
.LBB21_752:
	s_and_b64 vcc, exec, s[8:9]
	s_cbranch_vccz .LBB21_757
; %bb.753:
	s_cmp_eq_u32 s14, 44
	s_mov_b64 s[0:1], -1
	s_cbranch_scc0 .LBB21_757
; %bb.754:
	v_bfe_u32 v1, v22, 23, 8
	s_movk_i32 s0, 0xff
	v_cmp_ne_u32_e32 vcc, s0, v1
	v_mov_b32_e32 v3, 0xff
	s_and_saveexec_b64 s[6:7], vcc
; %bb.755:
	s_mov_b32 s0, 0x3fffff
	v_and_b32_e32 v6, 0x400000, v22
	v_and_or_b32 v1, v22, s0, v1
	v_cmp_ne_u32_e32 vcc, 0, v6
	v_cmp_ne_u32_e64 s[0:1], 0, v1
	s_and_b64 s[0:1], vcc, s[0:1]
	v_lshrrev_b32_e32 v3, 23, v22
	v_cndmask_b32_e64 v1, 0, 1, s[0:1]
	v_add_u32_e32 v3, v3, v1
; %bb.756:
	s_or_b64 exec, exec, s[6:7]
	s_mov_b64 s[0:1], 0
	s_mov_b64 s[6:7], -1
	global_store_byte v[4:5], v3, off
.LBB21_757:
	s_mov_b64 s[8:9], 0
.LBB21_758:
	s_and_b64 vcc, exec, s[8:9]
	s_cbranch_vccz .LBB21_761
; %bb.759:
	s_cmp_eq_u32 s14, 29
	s_mov_b64 s[0:1], -1
	s_cbranch_scc0 .LBB21_761
; %bb.760:
	v_trunc_f32_e32 v1, v22
	v_mul_f32_e32 v3, 0x2f800000, v1
	v_floor_f32_e32 v3, v3
	v_fmamk_f32 v1, v3, 0xcf800000, v1
	v_cvt_u32_f32_e32 v7, v3
	v_cvt_u32_f32_e32 v6, v1
	s_mov_b64 s[0:1], 0
	s_mov_b64 s[6:7], -1
	global_store_dwordx2 v[4:5], v[6:7], off
.LBB21_761:
	s_mov_b64 s[8:9], 0
.LBB21_762:
	s_and_b64 vcc, exec, s[8:9]
	s_cbranch_vccz .LBB21_778
; %bb.763:
	s_cmp_lt_i32 s14, 27
	s_mov_b64 s[6:7], -1
	s_cbranch_scc1 .LBB21_769
; %bb.764:
	v_cvt_u32_f32_e32 v1, v22
	s_cmp_gt_i32 s14, 27
	s_cbranch_scc0 .LBB21_766
; %bb.765:
	s_mov_b64 s[6:7], 0
	global_store_dword v[4:5], v1, off
.LBB21_766:
	s_andn2_b64 vcc, exec, s[6:7]
	s_cbranch_vccnz .LBB21_768
; %bb.767:
	global_store_short v[4:5], v1, off
.LBB21_768:
	s_mov_b64 s[6:7], 0
.LBB21_769:
	s_andn2_b64 vcc, exec, s[6:7]
	s_cbranch_vccnz .LBB21_777
; %bb.770:
	v_and_b32_e32 v1, 0x7fffffff, v22
	s_mov_b32 s6, 0x43800000
	v_cmp_gt_u32_e32 vcc, s6, v1
	v_mov_b32_e32 v3, 0x80
	s_and_saveexec_b64 s[6:7], vcc
	s_cbranch_execz .LBB21_776
; %bb.771:
	s_mov_b32 s8, 0x3bffffff
	v_cmp_lt_u32_e32 vcc, s8, v1
	s_mov_b64 s[8:9], 0
                                        ; implicit-def: $vgpr1
	s_and_saveexec_b64 s[10:11], vcc
	s_xor_b64 s[10:11], exec, s[10:11]
	s_cbranch_execz .LBB21_995
; %bb.772:
	v_bfe_u32 v1, v22, 20, 1
	s_mov_b32 s15, 0x487ffff
	v_add3_u32 v1, v22, v1, s15
	s_mov_b64 s[8:9], exec
	v_lshrrev_b32_e32 v1, 20, v1
	s_andn2_saveexec_b64 s[10:11], s[10:11]
	s_cbranch_execnz .LBB21_996
.LBB21_773:
	s_or_b64 exec, exec, s[10:11]
	v_mov_b32_e32 v3, 0
	s_and_saveexec_b64 s[10:11], s[8:9]
.LBB21_774:
	v_lshrrev_b32_e32 v3, 24, v22
	s_movk_i32 s8, 0x80
	v_and_or_b32 v3, v3, s8, v1
.LBB21_775:
	s_or_b64 exec, exec, s[10:11]
.LBB21_776:
	s_or_b64 exec, exec, s[6:7]
	global_store_byte v[4:5], v3, off
.LBB21_777:
	s_mov_b64 s[6:7], -1
.LBB21_778:
	s_mov_b64 s[8:9], 0
.LBB21_779:
	s_and_b64 vcc, exec, s[8:9]
	s_cbranch_vccz .LBB21_819
; %bb.780:
	s_cmp_gt_i32 s14, 22
	s_mov_b64 s[4:5], -1
	s_cbranch_scc0 .LBB21_812
; %bb.781:
	s_cmp_lt_i32 s14, 24
	s_cbranch_scc1 .LBB21_801
; %bb.782:
	s_cmp_gt_i32 s14, 24
	s_cbranch_scc0 .LBB21_790
; %bb.783:
	v_and_b32_e32 v1, 0x7fffffff, v22
	s_mov_b32 s4, 0x47800000
	v_cmp_gt_u32_e32 vcc, s4, v1
	v_mov_b32_e32 v3, 0x80
	s_and_saveexec_b64 s[4:5], vcc
	s_cbranch_execz .LBB21_789
; %bb.784:
	s_mov_b32 s6, 0x37ffffff
	v_cmp_lt_u32_e32 vcc, s6, v1
	s_mov_b64 s[6:7], 0
                                        ; implicit-def: $vgpr1
	s_and_saveexec_b64 s[8:9], vcc
	s_xor_b64 s[8:9], exec, s[8:9]
	s_cbranch_execz .LBB21_1000
; %bb.785:
	v_bfe_u32 v1, v22, 21, 1
	s_mov_b32 s10, 0x88fffff
	v_add3_u32 v1, v22, v1, s10
	s_mov_b64 s[6:7], exec
	v_lshrrev_b32_e32 v1, 21, v1
	s_andn2_saveexec_b64 s[8:9], s[8:9]
	s_cbranch_execnz .LBB21_1001
.LBB21_786:
	s_or_b64 exec, exec, s[8:9]
	v_mov_b32_e32 v3, 0
	s_and_saveexec_b64 s[8:9], s[6:7]
.LBB21_787:
	v_lshrrev_b32_e32 v3, 24, v22
	s_movk_i32 s6, 0x80
	v_and_or_b32 v3, v3, s6, v1
.LBB21_788:
	s_or_b64 exec, exec, s[8:9]
.LBB21_789:
	s_or_b64 exec, exec, s[4:5]
	s_mov_b64 s[4:5], 0
	global_store_byte v[4:5], v3, off
.LBB21_790:
	s_and_b64 vcc, exec, s[4:5]
	s_cbranch_vccz .LBB21_800
; %bb.791:
	v_and_b32_e32 v3, 0x7fffffff, v22
	s_mov_b32 s4, 0x43f00000
	v_cmp_gt_u32_e32 vcc, s4, v3
                                        ; implicit-def: $vgpr1
	s_and_saveexec_b64 s[4:5], vcc
	s_xor_b64 s[4:5], exec, s[4:5]
	s_cbranch_execz .LBB21_797
; %bb.792:
	s_mov_b32 s6, 0x3c7fffff
	v_cmp_lt_u32_e32 vcc, s6, v3
                                        ; implicit-def: $vgpr1
	s_and_saveexec_b64 s[6:7], vcc
	s_xor_b64 s[6:7], exec, s[6:7]
; %bb.793:
	v_bfe_u32 v1, v22, 20, 1
	s_mov_b32 s8, 0x407ffff
	v_add3_u32 v1, v22, v1, s8
	v_lshrrev_b32_e32 v3, 20, v1
	v_and_b32_e32 v1, 0xff00000, v1
	s_mov_b32 s8, 0x7f00000
	v_mov_b32_e32 v6, 0x7e
	v_cmp_ne_u32_e32 vcc, s8, v1
	s_nop 1
	v_cndmask_b32_e32 v1, v6, v3, vcc
; %bb.794:
	s_andn2_saveexec_b64 s[6:7], s[6:7]
; %bb.795:
	s_mov_b32 s8, 0x46800000
	v_add_f32_e64 v1, |v22|, s8
; %bb.796:
	s_or_b64 exec, exec, s[6:7]
                                        ; implicit-def: $vgpr3
.LBB21_797:
	s_andn2_saveexec_b64 s[4:5], s[4:5]
; %bb.798:
	s_mov_b32 s6, 0x7f800000
	v_mov_b32_e32 v1, 0x7e
	v_mov_b32_e32 v6, 0x7f
	v_cmp_lt_u32_e32 vcc, s6, v3
	s_nop 1
	v_cndmask_b32_e32 v1, v1, v6, vcc
; %bb.799:
	s_or_b64 exec, exec, s[4:5]
	v_lshrrev_b32_e32 v3, 24, v22
	s_movk_i32 s4, 0x80
	v_and_or_b32 v1, v3, s4, v1
	global_store_byte v[4:5], v1, off
.LBB21_800:
	s_mov_b64 s[4:5], 0
.LBB21_801:
	s_andn2_b64 vcc, exec, s[4:5]
	s_cbranch_vccnz .LBB21_811
; %bb.802:
	v_and_b32_e32 v3, 0x7fffffff, v22
	s_mov_b32 s4, 0x47800000
	v_cmp_gt_u32_e32 vcc, s4, v3
                                        ; implicit-def: $vgpr1
	s_and_saveexec_b64 s[4:5], vcc
	s_xor_b64 s[4:5], exec, s[4:5]
	s_cbranch_execz .LBB21_808
; %bb.803:
	s_mov_b32 s6, 0x387fffff
	v_cmp_lt_u32_e32 vcc, s6, v3
                                        ; implicit-def: $vgpr1
	s_and_saveexec_b64 s[6:7], vcc
	s_xor_b64 s[6:7], exec, s[6:7]
; %bb.804:
	v_bfe_u32 v1, v22, 21, 1
	s_mov_b32 s8, 0x80fffff
	v_add3_u32 v1, v22, v1, s8
	v_lshrrev_b32_e32 v1, 21, v1
; %bb.805:
	s_andn2_saveexec_b64 s[6:7], s[6:7]
; %bb.806:
	s_mov_b32 s8, 0x43000000
	v_add_f32_e64 v1, |v22|, s8
; %bb.807:
	s_or_b64 exec, exec, s[6:7]
                                        ; implicit-def: $vgpr3
.LBB21_808:
	s_andn2_saveexec_b64 s[4:5], s[4:5]
; %bb.809:
	s_mov_b32 s6, 0x7f800000
	v_mov_b32_e32 v1, 0x7c
	v_mov_b32_e32 v6, 0x7f
	v_cmp_lt_u32_e32 vcc, s6, v3
	s_nop 1
	v_cndmask_b32_e32 v1, v1, v6, vcc
; %bb.810:
	s_or_b64 exec, exec, s[4:5]
	v_lshrrev_b32_e32 v3, 24, v22
	s_movk_i32 s4, 0x80
	v_and_or_b32 v1, v3, s4, v1
	global_store_byte v[4:5], v1, off
.LBB21_811:
	s_mov_b64 s[4:5], 0
	s_mov_b64 s[6:7], -1
.LBB21_812:
	s_andn2_b64 vcc, exec, s[4:5]
	s_mov_b64 s[4:5], 0
	s_cbranch_vccnz .LBB21_819
; %bb.813:
	s_cmp_gt_i32 s14, 14
	s_mov_b64 s[8:9], -1
	s_cbranch_scc0 .LBB21_817
; %bb.814:
	s_cmp_eq_u32 s14, 15
	s_mov_b64 s[0:1], -1
	s_cbranch_scc0 .LBB21_816
; %bb.815:
	v_bfe_u32 v1, v22, 16, 1
	s_movk_i32 s0, 0x7fff
	v_add3_u32 v1, v22, v1, s0
	v_cmp_o_f32_e32 vcc, v22, v22
	v_mov_b32_e32 v3, 0x7fc0
	s_mov_b64 s[0:1], 0
	v_cndmask_b32_sdwa v1, v3, v1, vcc dst_sel:DWORD dst_unused:UNUSED_PAD src0_sel:DWORD src1_sel:WORD_1
	global_store_short v[4:5], v1, off
	s_mov_b64 s[6:7], -1
.LBB21_816:
	s_mov_b64 s[8:9], 0
.LBB21_817:
	s_and_b64 vcc, exec, s[8:9]
	s_cbranch_vccz .LBB21_819
; %bb.818:
	s_cmp_lg_u32 s14, 11
	s_mov_b64 s[4:5], -1
	s_cselect_b64 s[0:1], -1, 0
.LBB21_819:
	s_and_b64 vcc, exec, s[0:1]
	s_cbranch_vccnz .LBB21_997
; %bb.820:
	s_andn2_b64 vcc, exec, s[4:5]
	s_cbranch_vccnz .LBB21_822
.LBB21_821:
	v_cmp_neq_f32_e32 vcc, 0, v22
	s_mov_b64 s[6:7], -1
	s_nop 0
	v_cndmask_b32_e64 v1, 0, 1, vcc
	global_store_byte v[4:5], v1, off
.LBB21_822:
.LBB21_823:
	s_andn2_b64 vcc, exec, s[6:7]
	s_cbranch_vccnz .LBB21_939
.LBB21_824:
	v_add_u32_e32 v2, s13, v2
	v_ashrrev_i32_e32 v3, 31, v2
	s_cmp_lt_i32 s12, 11
	v_lshl_add_u64 v[2:3], s[24:25], 0, v[2:3]
	s_cbranch_scc1 .LBB21_984
; %bb.825:
	s_and_b32 s13, 0xffff, s12
	s_mov_b64 s[6:7], -1
	s_mov_b64 s[4:5], 0
	s_cmp_gt_i32 s13, 25
	s_mov_b64 s[0:1], 0
	s_cbranch_scc0 .LBB21_858
; %bb.826:
	s_cmp_gt_i32 s13, 28
	s_cbranch_scc0 .LBB21_842
; %bb.827:
	s_cmp_gt_i32 s13, 43
	;; [unrolled: 3-line block ×3, first 2 shown]
	s_cbranch_scc0 .LBB21_832
; %bb.829:
	s_cmp_eq_u32 s13, 46
	s_mov_b64 s[0:1], -1
	s_cbranch_scc0 .LBB21_831
; %bb.830:
	v_bfe_u32 v1, v0, 16, 1
	s_movk_i32 s0, 0x7fff
	v_add3_u32 v1, v0, v1, s0
	v_cmp_o_f32_e32 vcc, v0, v0
	v_mov_b32_e32 v4, 0x7fc0
	s_mov_b64 s[0:1], 0
	v_cndmask_b32_sdwa v1, v4, v1, vcc dst_sel:DWORD dst_unused:UNUSED_PAD src0_sel:DWORD src1_sel:WORD_1
	global_store_dword v[2:3], v1, off
.LBB21_831:
	s_mov_b64 s[6:7], 0
.LBB21_832:
	s_and_b64 vcc, exec, s[6:7]
	s_cbranch_vccz .LBB21_837
; %bb.833:
	s_cmp_eq_u32 s13, 44
	s_mov_b64 s[0:1], -1
	s_cbranch_scc0 .LBB21_837
; %bb.834:
	v_bfe_u32 v1, v0, 23, 8
	s_movk_i32 s0, 0xff
	v_cmp_ne_u32_e32 vcc, s0, v1
	v_mov_b32_e32 v4, 0xff
	s_and_saveexec_b64 s[6:7], vcc
; %bb.835:
	s_mov_b32 s0, 0x3fffff
	v_and_b32_e32 v5, 0x400000, v0
	v_and_or_b32 v1, v0, s0, v1
	v_cmp_ne_u32_e32 vcc, 0, v5
	v_cmp_ne_u32_e64 s[0:1], 0, v1
	s_and_b64 s[0:1], vcc, s[0:1]
	v_lshrrev_b32_e32 v4, 23, v0
	v_cndmask_b32_e64 v1, 0, 1, s[0:1]
	v_add_u32_e32 v4, v4, v1
; %bb.836:
	s_or_b64 exec, exec, s[6:7]
	s_mov_b64 s[0:1], 0
	global_store_byte v[2:3], v4, off
.LBB21_837:
	s_mov_b64 s[6:7], 0
.LBB21_838:
	s_and_b64 vcc, exec, s[6:7]
	s_cbranch_vccz .LBB21_841
; %bb.839:
	s_cmp_eq_u32 s13, 29
	s_mov_b64 s[0:1], -1
	s_cbranch_scc0 .LBB21_841
; %bb.840:
	v_trunc_f32_e32 v1, v0
	v_mul_f32_e32 v4, 0x2f800000, v1
	v_floor_f32_e32 v4, v4
	v_fmamk_f32 v1, v4, 0xcf800000, v1
	v_cvt_u32_f32_e32 v5, v4
	v_cvt_u32_f32_e32 v4, v1
	s_mov_b64 s[0:1], 0
	global_store_dwordx2 v[2:3], v[4:5], off
.LBB21_841:
	s_mov_b64 s[6:7], 0
.LBB21_842:
	s_and_b64 vcc, exec, s[6:7]
	s_cbranch_vccz .LBB21_857
; %bb.843:
	s_cmp_lt_i32 s13, 27
	s_mov_b64 s[6:7], -1
	s_cbranch_scc1 .LBB21_849
; %bb.844:
	v_cvt_u32_f32_e32 v1, v0
	s_cmp_gt_i32 s13, 27
	s_cbranch_scc0 .LBB21_846
; %bb.845:
	global_store_dword v[2:3], v1, off
	s_mov_b64 s[6:7], 0
.LBB21_846:
	s_andn2_b64 vcc, exec, s[6:7]
	s_cbranch_vccnz .LBB21_848
; %bb.847:
	global_store_short v[2:3], v1, off
.LBB21_848:
	s_mov_b64 s[6:7], 0
.LBB21_849:
	s_andn2_b64 vcc, exec, s[6:7]
	s_cbranch_vccnz .LBB21_857
; %bb.850:
	v_and_b32_e32 v1, 0x7fffffff, v0
	s_mov_b32 s6, 0x43800000
	v_cmp_gt_u32_e32 vcc, s6, v1
	v_mov_b32_e32 v4, 0x80
	s_and_saveexec_b64 s[6:7], vcc
	s_cbranch_execz .LBB21_856
; %bb.851:
	s_mov_b32 s8, 0x3bffffff
	v_cmp_lt_u32_e32 vcc, s8, v1
	s_mov_b64 s[8:9], 0
                                        ; implicit-def: $vgpr1
	s_and_saveexec_b64 s[10:11], vcc
	s_xor_b64 s[10:11], exec, s[10:11]
	s_cbranch_execz .LBB21_1002
; %bb.852:
	v_bfe_u32 v1, v0, 20, 1
	s_mov_b32 s14, 0x487ffff
	v_add3_u32 v1, v0, v1, s14
	s_mov_b64 s[8:9], exec
	v_lshrrev_b32_e32 v1, 20, v1
	s_andn2_saveexec_b64 s[10:11], s[10:11]
	s_cbranch_execnz .LBB21_1003
.LBB21_853:
	s_or_b64 exec, exec, s[10:11]
	v_mov_b32_e32 v4, 0
	s_and_saveexec_b64 s[10:11], s[8:9]
.LBB21_854:
	v_lshrrev_b32_e32 v4, 24, v0
	s_movk_i32 s8, 0x80
	v_and_or_b32 v4, v4, s8, v1
.LBB21_855:
	s_or_b64 exec, exec, s[10:11]
.LBB21_856:
	s_or_b64 exec, exec, s[6:7]
	global_store_byte v[2:3], v4, off
.LBB21_857:
	s_mov_b64 s[6:7], 0
.LBB21_858:
	s_and_b64 vcc, exec, s[6:7]
	s_cbranch_vccz .LBB21_898
; %bb.859:
	s_cmp_gt_i32 s13, 22
	s_mov_b64 s[4:5], -1
	s_cbranch_scc0 .LBB21_891
; %bb.860:
	s_cmp_lt_i32 s13, 24
	s_cbranch_scc1 .LBB21_880
; %bb.861:
	s_cmp_gt_i32 s13, 24
	s_cbranch_scc0 .LBB21_869
; %bb.862:
	v_and_b32_e32 v1, 0x7fffffff, v0
	s_mov_b32 s4, 0x47800000
	v_cmp_gt_u32_e32 vcc, s4, v1
	v_mov_b32_e32 v4, 0x80
	s_and_saveexec_b64 s[4:5], vcc
	s_cbranch_execz .LBB21_868
; %bb.863:
	s_mov_b32 s6, 0x37ffffff
	v_cmp_lt_u32_e32 vcc, s6, v1
	s_mov_b64 s[6:7], 0
                                        ; implicit-def: $vgpr1
	s_and_saveexec_b64 s[8:9], vcc
	s_xor_b64 s[8:9], exec, s[8:9]
	s_cbranch_execz .LBB21_1009
; %bb.864:
	v_bfe_u32 v1, v0, 21, 1
	s_mov_b32 s10, 0x88fffff
	v_add3_u32 v1, v0, v1, s10
	s_mov_b64 s[6:7], exec
	v_lshrrev_b32_e32 v1, 21, v1
	s_andn2_saveexec_b64 s[8:9], s[8:9]
	s_cbranch_execnz .LBB21_1010
.LBB21_865:
	s_or_b64 exec, exec, s[8:9]
	v_mov_b32_e32 v4, 0
	s_and_saveexec_b64 s[8:9], s[6:7]
.LBB21_866:
	v_lshrrev_b32_e32 v4, 24, v0
	s_movk_i32 s6, 0x80
	v_and_or_b32 v4, v4, s6, v1
.LBB21_867:
	s_or_b64 exec, exec, s[8:9]
.LBB21_868:
	s_or_b64 exec, exec, s[4:5]
	s_mov_b64 s[4:5], 0
	global_store_byte v[2:3], v4, off
.LBB21_869:
	s_and_b64 vcc, exec, s[4:5]
	s_cbranch_vccz .LBB21_879
; %bb.870:
	v_and_b32_e32 v4, 0x7fffffff, v0
	s_mov_b32 s4, 0x43f00000
	v_cmp_gt_u32_e32 vcc, s4, v4
                                        ; implicit-def: $vgpr1
	s_and_saveexec_b64 s[4:5], vcc
	s_xor_b64 s[4:5], exec, s[4:5]
	s_cbranch_execz .LBB21_876
; %bb.871:
	s_mov_b32 s6, 0x3c7fffff
	v_cmp_lt_u32_e32 vcc, s6, v4
                                        ; implicit-def: $vgpr1
	s_and_saveexec_b64 s[6:7], vcc
	s_xor_b64 s[6:7], exec, s[6:7]
; %bb.872:
	v_bfe_u32 v1, v0, 20, 1
	s_mov_b32 s8, 0x407ffff
	v_add3_u32 v1, v0, v1, s8
	v_lshrrev_b32_e32 v4, 20, v1
	v_and_b32_e32 v1, 0xff00000, v1
	s_mov_b32 s8, 0x7f00000
	v_mov_b32_e32 v5, 0x7e
	v_cmp_ne_u32_e32 vcc, s8, v1
	s_nop 1
	v_cndmask_b32_e32 v1, v5, v4, vcc
; %bb.873:
	s_andn2_saveexec_b64 s[6:7], s[6:7]
; %bb.874:
	s_mov_b32 s8, 0x46800000
	v_add_f32_e64 v1, |v0|, s8
; %bb.875:
	s_or_b64 exec, exec, s[6:7]
                                        ; implicit-def: $vgpr4
.LBB21_876:
	s_andn2_saveexec_b64 s[4:5], s[4:5]
; %bb.877:
	s_mov_b32 s6, 0x7f800000
	v_mov_b32_e32 v1, 0x7e
	v_mov_b32_e32 v5, 0x7f
	v_cmp_lt_u32_e32 vcc, s6, v4
	s_nop 1
	v_cndmask_b32_e32 v1, v1, v5, vcc
; %bb.878:
	s_or_b64 exec, exec, s[4:5]
	v_lshrrev_b32_e32 v4, 24, v0
	s_movk_i32 s4, 0x80
	v_and_or_b32 v1, v4, s4, v1
	global_store_byte v[2:3], v1, off
.LBB21_879:
	s_mov_b64 s[4:5], 0
.LBB21_880:
	s_andn2_b64 vcc, exec, s[4:5]
	s_cbranch_vccnz .LBB21_890
; %bb.881:
	v_and_b32_e32 v4, 0x7fffffff, v0
	s_mov_b32 s4, 0x47800000
	v_cmp_gt_u32_e32 vcc, s4, v4
                                        ; implicit-def: $vgpr1
	s_and_saveexec_b64 s[4:5], vcc
	s_xor_b64 s[4:5], exec, s[4:5]
	s_cbranch_execz .LBB21_887
; %bb.882:
	s_mov_b32 s6, 0x387fffff
	v_cmp_lt_u32_e32 vcc, s6, v4
                                        ; implicit-def: $vgpr1
	s_and_saveexec_b64 s[6:7], vcc
	s_xor_b64 s[6:7], exec, s[6:7]
; %bb.883:
	v_bfe_u32 v1, v0, 21, 1
	s_mov_b32 s8, 0x80fffff
	v_add3_u32 v1, v0, v1, s8
	v_lshrrev_b32_e32 v1, 21, v1
; %bb.884:
	s_andn2_saveexec_b64 s[6:7], s[6:7]
; %bb.885:
	s_mov_b32 s8, 0x43000000
	v_add_f32_e64 v1, |v0|, s8
; %bb.886:
	s_or_b64 exec, exec, s[6:7]
                                        ; implicit-def: $vgpr4
.LBB21_887:
	s_andn2_saveexec_b64 s[4:5], s[4:5]
; %bb.888:
	s_mov_b32 s6, 0x7f800000
	v_mov_b32_e32 v1, 0x7c
	v_mov_b32_e32 v5, 0x7f
	v_cmp_lt_u32_e32 vcc, s6, v4
	s_nop 1
	v_cndmask_b32_e32 v1, v1, v5, vcc
; %bb.889:
	s_or_b64 exec, exec, s[4:5]
	v_lshrrev_b32_e32 v4, 24, v0
	s_movk_i32 s4, 0x80
	v_and_or_b32 v1, v4, s4, v1
	global_store_byte v[2:3], v1, off
.LBB21_890:
	s_mov_b64 s[4:5], 0
.LBB21_891:
	s_andn2_b64 vcc, exec, s[4:5]
	s_mov_b64 s[4:5], 0
	s_cbranch_vccnz .LBB21_898
; %bb.892:
	s_cmp_gt_i32 s13, 14
	s_mov_b64 s[6:7], -1
	s_cbranch_scc0 .LBB21_896
; %bb.893:
	s_cmp_eq_u32 s13, 15
	s_mov_b64 s[0:1], -1
	s_cbranch_scc0 .LBB21_895
; %bb.894:
	v_bfe_u32 v1, v0, 16, 1
	s_movk_i32 s0, 0x7fff
	v_add3_u32 v1, v0, v1, s0
	v_cmp_o_f32_e32 vcc, v0, v0
	v_mov_b32_e32 v4, 0x7fc0
	s_mov_b64 s[0:1], 0
	v_cndmask_b32_sdwa v1, v4, v1, vcc dst_sel:DWORD dst_unused:UNUSED_PAD src0_sel:DWORD src1_sel:WORD_1
	global_store_short v[2:3], v1, off
.LBB21_895:
	s_mov_b64 s[6:7], 0
.LBB21_896:
	s_and_b64 vcc, exec, s[6:7]
	s_cbranch_vccz .LBB21_898
; %bb.897:
	s_cmp_lg_u32 s13, 11
	s_mov_b64 s[4:5], -1
	s_cselect_b64 s[0:1], -1, 0
.LBB21_898:
	s_and_b64 vcc, exec, s[0:1]
	s_cbranch_vccnz .LBB21_1004
.LBB21_899:
	s_mov_b64 s[0:1], 0
	s_branch .LBB21_940
.LBB21_900:
	s_mov_b64 s[6:7], 0
	s_cbranch_execz .LBB21_823
; %bb.901:
	s_and_b32 s4, 0xffff, s12
	s_cmp_lt_i32 s4, 5
	s_mov_b64 s[0:1], -1
	s_cbranch_scc1 .LBB21_922
; %bb.902:
	s_cmp_lt_i32 s4, 8
	s_cbranch_scc1 .LBB21_912
; %bb.903:
	s_cmp_lt_i32 s4, 9
	s_cbranch_scc1 .LBB21_909
; %bb.904:
	s_cmp_gt_i32 s4, 9
	s_cbranch_scc0 .LBB21_906
; %bb.905:
	v_mov_b32_e32 v8, 0
	v_cvt_f64_f32_e32 v[6:7], v22
	v_mov_b32_e32 v9, v8
	global_store_dwordx4 v[4:5], v[6:9], off
	s_mov_b64 s[0:1], 0
.LBB21_906:
	s_andn2_b64 vcc, exec, s[0:1]
	s_cbranch_vccnz .LBB21_908
; %bb.907:
	v_mov_b32_e32 v23, 0
	global_store_dwordx2 v[4:5], v[22:23], off
.LBB21_908:
	s_mov_b64 s[0:1], 0
.LBB21_909:
	s_andn2_b64 vcc, exec, s[0:1]
	s_cbranch_vccnz .LBB21_911
; %bb.910:
	v_cvt_f16_f32_e32 v1, v22
	global_store_dword v[4:5], v1, off
.LBB21_911:
	s_mov_b64 s[0:1], 0
.LBB21_912:
	s_andn2_b64 vcc, exec, s[0:1]
	s_cbranch_vccnz .LBB21_921
; %bb.913:
	s_cmp_lt_i32 s4, 6
	s_mov_b64 s[0:1], -1
	s_cbranch_scc1 .LBB21_919
; %bb.914:
	s_cmp_gt_i32 s4, 6
	s_cbranch_scc0 .LBB21_916
; %bb.915:
	v_cvt_f64_f32_e32 v[6:7], v22
	global_store_dwordx2 v[4:5], v[6:7], off
	s_mov_b64 s[0:1], 0
.LBB21_916:
	s_andn2_b64 vcc, exec, s[0:1]
	s_cbranch_vccnz .LBB21_918
; %bb.917:
	global_store_dword v[4:5], v22, off
.LBB21_918:
	s_mov_b64 s[0:1], 0
.LBB21_919:
	s_andn2_b64 vcc, exec, s[0:1]
	s_cbranch_vccnz .LBB21_921
; %bb.920:
	v_cvt_f16_f32_e32 v1, v22
	global_store_short v[4:5], v1, off
.LBB21_921:
	s_mov_b64 s[0:1], 0
.LBB21_922:
	s_andn2_b64 vcc, exec, s[0:1]
	s_cbranch_vccnz .LBB21_938
; %bb.923:
	s_cmp_lt_i32 s4, 2
	s_mov_b64 s[0:1], -1
	s_cbranch_scc1 .LBB21_933
; %bb.924:
	s_cmp_lt_i32 s4, 3
	s_cbranch_scc1 .LBB21_930
; %bb.925:
	s_cmp_gt_i32 s4, 3
	s_cbranch_scc0 .LBB21_927
; %bb.926:
	v_trunc_f32_e32 v1, v22
	s_mov_b32 s0, 0x2f800000
	v_mul_f32_e64 v3, |v1|, s0
	v_floor_f32_e32 v3, v3
	s_mov_b32 s0, 0xcf800000
	v_cvt_u32_f32_e32 v6, v3
	v_fma_f32 v3, v3, s0, |v1|
	v_cvt_u32_f32_e32 v3, v3
	v_ashrrev_i32_e32 v1, 31, v1
	v_xor_b32_e32 v7, v6, v1
	s_mov_b64 s[0:1], 0
	v_xor_b32_e32 v3, v3, v1
	v_sub_co_u32_e32 v6, vcc, v3, v1
	s_nop 1
	v_subb_co_u32_e32 v7, vcc, v7, v1, vcc
	global_store_dwordx2 v[4:5], v[6:7], off
.LBB21_927:
	s_andn2_b64 vcc, exec, s[0:1]
	s_cbranch_vccnz .LBB21_929
; %bb.928:
	v_cvt_i32_f32_e32 v1, v22
	global_store_dword v[4:5], v1, off
.LBB21_929:
	s_mov_b64 s[0:1], 0
.LBB21_930:
	s_andn2_b64 vcc, exec, s[0:1]
	s_cbranch_vccnz .LBB21_932
; %bb.931:
	v_cvt_i32_f32_e32 v1, v22
	global_store_short v[4:5], v1, off
.LBB21_932:
	s_mov_b64 s[0:1], 0
.LBB21_933:
	s_andn2_b64 vcc, exec, s[0:1]
	s_cbranch_vccnz .LBB21_938
; %bb.934:
	s_cmp_gt_i32 s4, 0
	s_mov_b64 s[0:1], -1
	s_cbranch_scc0 .LBB21_936
; %bb.935:
	v_cvt_i32_f32_e32 v1, v22
	s_mov_b64 s[0:1], 0
	global_store_byte v[4:5], v1, off
.LBB21_936:
	s_andn2_b64 vcc, exec, s[0:1]
	s_cbranch_vccnz .LBB21_938
; %bb.937:
	v_trunc_f32_e32 v1, v22
	s_mov_b32 s0, 0x2f800000
	v_mul_f32_e64 v3, |v1|, s0
	v_floor_f32_e32 v3, v3
	s_mov_b32 s0, 0xcf800000
	v_fma_f32 v3, v3, s0, |v1|
	v_cvt_u32_f32_e32 v3, v3
	v_ashrrev_i32_e32 v1, 31, v1
	v_xor_b32_e32 v3, v3, v1
	v_sub_u32_e32 v1, v3, v1
	global_store_byte v[4:5], v1, off
.LBB21_938:
	s_branch .LBB21_824
.LBB21_939:
	s_mov_b64 s[0:1], 0
	s_mov_b64 s[4:5], 0
                                        ; implicit-def: $sgpr12
                                        ; implicit-def: $vgpr2_vgpr3
.LBB21_940:
	s_and_b64 s[34:35], s[4:5], exec
	s_andn2_b64 s[4:5], s[38:39], exec
	s_and_b64 s[2:3], s[2:3], exec
	s_and_b64 s[0:1], s[0:1], exec
	s_or_b64 s[38:39], s[4:5], s[2:3]
.LBB21_941:
	s_or_b64 exec, exec, s[36:37]
	s_and_saveexec_b64 s[2:3], s[38:39]
	s_cbranch_execz .LBB21_944
; %bb.942:
	; divergent unreachable
	s_or_b64 exec, exec, s[2:3]
	s_and_saveexec_b64 s[2:3], s[34:35]
	s_xor_b64 s[2:3], exec, s[2:3]
	s_cbranch_execnz .LBB21_945
.LBB21_943:
	s_or_b64 exec, exec, s[2:3]
	s_and_saveexec_b64 s[2:3], s[0:1]
	s_cbranch_execnz .LBB21_946
	s_branch .LBB21_983
.LBB21_944:
	s_or_b64 exec, exec, s[2:3]
	s_and_saveexec_b64 s[2:3], s[34:35]
	s_xor_b64 s[2:3], exec, s[2:3]
	s_cbranch_execz .LBB21_943
.LBB21_945:
	v_cmp_neq_f32_e32 vcc, 0, v0
	s_nop 1
	v_cndmask_b32_e64 v1, 0, 1, vcc
	global_store_byte v[2:3], v1, off
	s_or_b64 exec, exec, s[2:3]
	s_and_saveexec_b64 s[2:3], s[0:1]
	s_cbranch_execz .LBB21_983
.LBB21_946:
	s_sext_i32_i16 s2, s12
	s_cmp_lt_i32 s2, 5
	s_mov_b64 s[0:1], -1
	s_cbranch_scc1 .LBB21_967
; %bb.947:
	s_cmp_lt_i32 s2, 8
	s_cbranch_scc1 .LBB21_957
; %bb.948:
	s_cmp_lt_i32 s2, 9
	s_cbranch_scc1 .LBB21_954
; %bb.949:
	s_cmp_gt_i32 s2, 9
	s_cbranch_scc0 .LBB21_951
; %bb.950:
	v_mov_b32_e32 v6, 0
	v_cvt_f64_f32_e32 v[4:5], v0
	v_mov_b32_e32 v7, v6
	global_store_dwordx4 v[2:3], v[4:7], off
	s_mov_b64 s[0:1], 0
.LBB21_951:
	s_andn2_b64 vcc, exec, s[0:1]
	s_cbranch_vccnz .LBB21_953
; %bb.952:
	v_mov_b32_e32 v1, 0
	global_store_dwordx2 v[2:3], v[0:1], off
.LBB21_953:
	s_mov_b64 s[0:1], 0
.LBB21_954:
	s_andn2_b64 vcc, exec, s[0:1]
	s_cbranch_vccnz .LBB21_956
; %bb.955:
	v_cvt_f16_f32_e32 v1, v0
	global_store_dword v[2:3], v1, off
.LBB21_956:
	s_mov_b64 s[0:1], 0
.LBB21_957:
	s_andn2_b64 vcc, exec, s[0:1]
	s_cbranch_vccnz .LBB21_966
; %bb.958:
	s_sext_i32_i16 s2, s12
	s_cmp_lt_i32 s2, 6
	s_mov_b64 s[0:1], -1
	s_cbranch_scc1 .LBB21_964
; %bb.959:
	s_cmp_gt_i32 s2, 6
	s_cbranch_scc0 .LBB21_961
; %bb.960:
	v_cvt_f64_f32_e32 v[4:5], v0
	global_store_dwordx2 v[2:3], v[4:5], off
	s_mov_b64 s[0:1], 0
.LBB21_961:
	s_andn2_b64 vcc, exec, s[0:1]
	s_cbranch_vccnz .LBB21_963
; %bb.962:
	global_store_dword v[2:3], v0, off
.LBB21_963:
	s_mov_b64 s[0:1], 0
.LBB21_964:
	s_andn2_b64 vcc, exec, s[0:1]
	s_cbranch_vccnz .LBB21_966
; %bb.965:
	v_cvt_f16_f32_e32 v1, v0
	global_store_short v[2:3], v1, off
.LBB21_966:
	s_mov_b64 s[0:1], 0
.LBB21_967:
	s_andn2_b64 vcc, exec, s[0:1]
	s_cbranch_vccnz .LBB21_983
; %bb.968:
	s_sext_i32_i16 s2, s12
	s_cmp_lt_i32 s2, 2
	s_mov_b64 s[0:1], -1
	s_cbranch_scc1 .LBB21_978
; %bb.969:
	s_cmp_lt_i32 s2, 3
	s_cbranch_scc1 .LBB21_975
; %bb.970:
	s_cmp_gt_i32 s2, 3
	s_cbranch_scc0 .LBB21_972
; %bb.971:
	v_trunc_f32_e32 v1, v0
	s_mov_b32 s0, 0x2f800000
	v_mul_f32_e64 v4, |v1|, s0
	v_floor_f32_e32 v4, v4
	s_mov_b32 s0, 0xcf800000
	v_cvt_u32_f32_e32 v5, v4
	v_fma_f32 v4, v4, s0, |v1|
	v_cvt_u32_f32_e32 v4, v4
	v_ashrrev_i32_e32 v1, 31, v1
	v_xor_b32_e32 v5, v5, v1
	s_mov_b64 s[0:1], 0
	v_xor_b32_e32 v4, v4, v1
	v_sub_co_u32_e32 v4, vcc, v4, v1
	s_nop 1
	v_subb_co_u32_e32 v5, vcc, v5, v1, vcc
	global_store_dwordx2 v[2:3], v[4:5], off
.LBB21_972:
	s_andn2_b64 vcc, exec, s[0:1]
	s_cbranch_vccnz .LBB21_974
; %bb.973:
	v_cvt_i32_f32_e32 v1, v0
	global_store_dword v[2:3], v1, off
.LBB21_974:
	s_mov_b64 s[0:1], 0
.LBB21_975:
	s_andn2_b64 vcc, exec, s[0:1]
	s_cbranch_vccnz .LBB21_977
; %bb.976:
	v_cvt_i32_f32_e32 v1, v0
	global_store_short v[2:3], v1, off
.LBB21_977:
	s_mov_b64 s[0:1], 0
.LBB21_978:
	s_andn2_b64 vcc, exec, s[0:1]
	s_cbranch_vccnz .LBB21_983
; %bb.979:
	s_sext_i32_i16 s0, s12
	s_cmp_gt_i32 s0, 0
	s_mov_b64 s[0:1], -1
	s_cbranch_scc0 .LBB21_981
; %bb.980:
	v_cvt_i32_f32_e32 v1, v0
	s_mov_b64 s[0:1], 0
	global_store_byte v[2:3], v1, off
.LBB21_981:
	s_andn2_b64 vcc, exec, s[0:1]
	s_cbranch_vccnz .LBB21_983
; %bb.982:
	v_trunc_f32_e32 v0, v0
	s_mov_b32 s0, 0x2f800000
	v_mul_f32_e64 v1, |v0|, s0
	v_floor_f32_e32 v1, v1
	s_mov_b32 s0, 0xcf800000
	v_fma_f32 v1, v1, s0, |v0|
	v_cvt_u32_f32_e32 v1, v1
	v_ashrrev_i32_e32 v0, 31, v0
	v_xor_b32_e32 v1, v1, v0
	v_sub_u32_e32 v0, v1, v0
	global_store_byte v[2:3], v0, off
	s_endpgm
.LBB21_983:
	s_endpgm
.LBB21_984:
	s_mov_b64 s[4:5], 0
	s_mov_b64 s[0:1], -1
	s_branch .LBB21_940
.LBB21_985:
	s_andn2_saveexec_b64 s[8:9], s[8:9]
	s_cbranch_execz .LBB21_537
.LBB21_986:
	s_mov_b32 s11, 0x46000000
	v_add_f32_e64 v1, |v26|, s11
	v_and_b32_e32 v1, 0xff, v1
	v_cmp_ne_u32_e32 vcc, 0, v1
	s_andn2_b64 s[6:7], s[6:7], exec
	s_and_b64 s[14:15], vcc, exec
	s_or_b64 s[6:7], s[6:7], s[14:15]
	s_or_b64 exec, exec, s[8:9]
	v_mov_b32_e32 v3, 0
	s_and_saveexec_b64 s[8:9], s[6:7]
	s_cbranch_execnz .LBB21_538
	s_branch .LBB21_539
.LBB21_987:
	s_or_b64 s[2:3], s[38:39], exec
	s_trap 2
	s_cbranch_execz .LBB21_585
	s_branch .LBB21_586
.LBB21_988:
	s_andn2_saveexec_b64 s[6:7], s[6:7]
	s_cbranch_execz .LBB21_550
.LBB21_989:
	s_mov_b32 s8, 0x42800000
	v_add_f32_e64 v1, |v26|, s8
	v_and_b32_e32 v1, 0xff, v1
	v_cmp_ne_u32_e32 vcc, 0, v1
	s_andn2_b64 s[4:5], s[4:5], exec
	s_and_b64 s[8:9], vcc, exec
	s_or_b64 s[4:5], s[4:5], s[8:9]
	s_or_b64 exec, exec, s[6:7]
	v_mov_b32_e32 v3, 0
	s_and_saveexec_b64 s[6:7], s[4:5]
	s_cbranch_execnz .LBB21_551
	s_branch .LBB21_552
.LBB21_990:
	s_andn2_saveexec_b64 s[10:11], s[10:11]
	s_cbranch_execz .LBB21_655
.LBB21_991:
	s_mov_b32 s15, 0x46000000
	v_add_f32_e64 v1, |v24|, s15
	v_and_b32_e32 v1, 0xff, v1
	v_cmp_ne_u32_e32 vcc, 0, v1
	s_andn2_b64 s[8:9], s[8:9], exec
	s_and_b64 s[16:17], vcc, exec
	s_or_b64 s[8:9], s[8:9], s[16:17]
	s_or_b64 exec, exec, s[10:11]
	v_mov_b32_e32 v3, 0
	s_and_saveexec_b64 s[10:11], s[8:9]
	s_cbranch_execnz .LBB21_656
	s_branch .LBB21_657
.LBB21_992:
	s_trap 2
	s_or_b64 s[2:3], s[2:3], exec
	s_cbranch_execz .LBB21_703
	s_branch .LBB21_704
.LBB21_993:
	s_andn2_saveexec_b64 s[8:9], s[8:9]
	s_cbranch_execz .LBB21_668
.LBB21_994:
	s_mov_b32 s10, 0x42800000
	v_add_f32_e64 v1, |v24|, s10
	v_and_b32_e32 v1, 0xff, v1
	v_cmp_ne_u32_e32 vcc, 0, v1
	s_andn2_b64 s[6:7], s[6:7], exec
	s_and_b64 s[10:11], vcc, exec
	s_or_b64 s[6:7], s[6:7], s[10:11]
	s_or_b64 exec, exec, s[8:9]
	v_mov_b32_e32 v3, 0
	s_and_saveexec_b64 s[8:9], s[6:7]
	s_cbranch_execnz .LBB21_669
	s_branch .LBB21_670
.LBB21_995:
	s_andn2_saveexec_b64 s[10:11], s[10:11]
	s_cbranch_execz .LBB21_773
.LBB21_996:
	s_mov_b32 s15, 0x46000000
	v_add_f32_e64 v1, |v22|, s15
	v_and_b32_e32 v1, 0xff, v1
	v_cmp_ne_u32_e32 vcc, 0, v1
	s_andn2_b64 s[8:9], s[8:9], exec
	s_and_b64 s[16:17], vcc, exec
	s_or_b64 s[8:9], s[8:9], s[16:17]
	s_or_b64 exec, exec, s[10:11]
	v_mov_b32_e32 v3, 0
	s_and_saveexec_b64 s[10:11], s[8:9]
	s_cbranch_execnz .LBB21_774
	s_branch .LBB21_775
.LBB21_997:
	s_trap 2
	s_or_b64 s[2:3], s[2:3], exec
	s_cbranch_execz .LBB21_821
	s_branch .LBB21_822
.LBB21_998:
	s_andn2_saveexec_b64 s[6:7], s[6:7]
	s_cbranch_execz .LBB21_295
.LBB21_999:
	s_mov_b32 s10, 0x46000000
	v_add_f32_e64 v1, |v0|, s10
	v_and_b32_e32 v1, 0xff, v1
	v_cmp_ne_u32_e32 vcc, 0, v1
	s_andn2_b64 s[4:5], s[4:5], exec
	s_and_b64 s[10:11], vcc, exec
	s_or_b64 s[4:5], s[4:5], s[10:11]
	s_or_b64 exec, exec, s[6:7]
	v_mov_b32_e32 v4, 0
	s_and_saveexec_b64 s[6:7], s[4:5]
	s_cbranch_execnz .LBB21_296
	s_branch .LBB21_297
.LBB21_1000:
	s_andn2_saveexec_b64 s[8:9], s[8:9]
	s_cbranch_execz .LBB21_786
.LBB21_1001:
	s_mov_b32 s10, 0x42800000
	v_add_f32_e64 v1, |v22|, s10
	v_and_b32_e32 v1, 0xff, v1
	v_cmp_ne_u32_e32 vcc, 0, v1
	s_andn2_b64 s[6:7], s[6:7], exec
	s_and_b64 s[10:11], vcc, exec
	s_or_b64 s[6:7], s[6:7], s[10:11]
	s_or_b64 exec, exec, s[8:9]
	v_mov_b32_e32 v3, 0
	s_and_saveexec_b64 s[8:9], s[6:7]
	s_cbranch_execnz .LBB21_787
	s_branch .LBB21_788
.LBB21_1002:
	s_andn2_saveexec_b64 s[10:11], s[10:11]
	s_cbranch_execz .LBB21_853
.LBB21_1003:
	s_mov_b32 s14, 0x46000000
	v_add_f32_e64 v1, |v0|, s14
	v_and_b32_e32 v1, 0xff, v1
	v_cmp_ne_u32_e32 vcc, 0, v1
	s_andn2_b64 s[8:9], s[8:9], exec
	s_and_b64 s[14:15], vcc, exec
	s_or_b64 s[8:9], s[8:9], s[14:15]
	s_or_b64 exec, exec, s[10:11]
	v_mov_b32_e32 v4, 0
	s_and_saveexec_b64 s[10:11], s[8:9]
	s_cbranch_execnz .LBB21_854
	s_branch .LBB21_855
.LBB21_1004:
	s_mov_b64 s[4:5], 0
	s_or_b64 s[2:3], s[2:3], exec
	s_trap 2
	s_branch .LBB21_899
.LBB21_1005:
	s_andn2_saveexec_b64 s[6:7], s[6:7]
	s_cbranch_execz .LBB21_308
.LBB21_1006:
	s_mov_b32 s10, 0x42800000
	v_add_f32_e64 v1, |v0|, s10
	v_and_b32_e32 v1, 0xff, v1
	v_cmp_ne_u32_e32 vcc, 0, v1
	s_andn2_b64 s[4:5], s[4:5], exec
	s_and_b64 s[10:11], vcc, exec
	s_or_b64 s[4:5], s[4:5], s[10:11]
	s_or_b64 exec, exec, s[6:7]
	v_mov_b32_e32 v4, 0
	s_and_saveexec_b64 s[6:7], s[4:5]
	s_cbranch_execnz .LBB21_309
	s_branch .LBB21_310
.LBB21_1007:
	s_andn2_saveexec_b64 s[6:7], s[6:7]
	s_cbranch_execz .LBB21_418
.LBB21_1008:
	s_mov_b32 s8, 0x46000000
	v_add_f32_e64 v1, |v0|, s8
	v_and_b32_e32 v1, 0xff, v1
	v_cmp_ne_u32_e32 vcc, 0, v1
	s_andn2_b64 s[4:5], s[4:5], exec
	s_and_b64 s[8:9], vcc, exec
	s_or_b64 s[4:5], s[4:5], s[8:9]
	s_or_b64 exec, exec, s[6:7]
	v_mov_b32_e32 v4, 0
	s_and_saveexec_b64 s[6:7], s[4:5]
	s_cbranch_execnz .LBB21_419
	s_branch .LBB21_420
.LBB21_1009:
	s_andn2_saveexec_b64 s[8:9], s[8:9]
	s_cbranch_execz .LBB21_865
.LBB21_1010:
	s_mov_b32 s10, 0x42800000
	v_add_f32_e64 v1, |v0|, s10
	v_and_b32_e32 v1, 0xff, v1
	v_cmp_ne_u32_e32 vcc, 0, v1
	s_andn2_b64 s[6:7], s[6:7], exec
	s_and_b64 s[10:11], vcc, exec
	s_or_b64 s[6:7], s[6:7], s[10:11]
	s_or_b64 exec, exec, s[8:9]
	v_mov_b32_e32 v4, 0
	s_and_saveexec_b64 s[8:9], s[6:7]
	s_cbranch_execnz .LBB21_866
	s_branch .LBB21_867
.LBB21_1011:
	s_andn2_saveexec_b64 s[8:9], s[8:9]
	s_cbranch_execz .LBB21_430
.LBB21_1012:
	s_mov_b32 s12, 0x42800000
	v_add_f32_e64 v1, |v0|, s12
	v_and_b32_e32 v1, 0xff, v1
	v_cmp_ne_u32_e32 vcc, 0, v1
	s_andn2_b64 s[6:7], s[6:7], exec
	s_and_b64 s[12:13], vcc, exec
	s_or_b64 s[6:7], s[6:7], s[12:13]
	s_or_b64 exec, exec, s[8:9]
	v_mov_b32_e32 v4, 0
	s_and_saveexec_b64 s[8:9], s[6:7]
	s_cbranch_execnz .LBB21_431
	s_branch .LBB21_432
	.section	.rodata,"a",@progbits
	.p2align	6, 0x0
	.amdhsa_kernel _ZN2at6native32elementwise_kernel_manual_unrollILi128ELi4EZNS0_15gpu_kernel_implIZZZNS0_12_GLOBAL__N_121bessel_y1_kernel_cudaERNS_18TensorIteratorBaseEENKUlvE_clEvENKUlvE0_clEvEUlfE_EEvS5_RKT_EUlibE_EEviT1_
		.amdhsa_group_segment_fixed_size 0
		.amdhsa_private_segment_fixed_size 0
		.amdhsa_kernarg_size 40
		.amdhsa_user_sgpr_count 2
		.amdhsa_user_sgpr_dispatch_ptr 0
		.amdhsa_user_sgpr_queue_ptr 0
		.amdhsa_user_sgpr_kernarg_segment_ptr 1
		.amdhsa_user_sgpr_dispatch_id 0
		.amdhsa_user_sgpr_kernarg_preload_length 0
		.amdhsa_user_sgpr_kernarg_preload_offset 0
		.amdhsa_user_sgpr_private_segment_size 0
		.amdhsa_uses_dynamic_stack 0
		.amdhsa_enable_private_segment 0
		.amdhsa_system_sgpr_workgroup_id_x 1
		.amdhsa_system_sgpr_workgroup_id_y 0
		.amdhsa_system_sgpr_workgroup_id_z 0
		.amdhsa_system_sgpr_workgroup_info 0
		.amdhsa_system_vgpr_workitem_id 0
		.amdhsa_next_free_vgpr 28
		.amdhsa_next_free_sgpr 52
		.amdhsa_accum_offset 28
		.amdhsa_reserve_vcc 1
		.amdhsa_float_round_mode_32 0
		.amdhsa_float_round_mode_16_64 0
		.amdhsa_float_denorm_mode_32 3
		.amdhsa_float_denorm_mode_16_64 3
		.amdhsa_dx10_clamp 1
		.amdhsa_ieee_mode 1
		.amdhsa_fp16_overflow 0
		.amdhsa_tg_split 0
		.amdhsa_exception_fp_ieee_invalid_op 0
		.amdhsa_exception_fp_denorm_src 0
		.amdhsa_exception_fp_ieee_div_zero 0
		.amdhsa_exception_fp_ieee_overflow 0
		.amdhsa_exception_fp_ieee_underflow 0
		.amdhsa_exception_fp_ieee_inexact 0
		.amdhsa_exception_int_div_zero 0
	.end_amdhsa_kernel
	.section	.text._ZN2at6native32elementwise_kernel_manual_unrollILi128ELi4EZNS0_15gpu_kernel_implIZZZNS0_12_GLOBAL__N_121bessel_y1_kernel_cudaERNS_18TensorIteratorBaseEENKUlvE_clEvENKUlvE0_clEvEUlfE_EEvS5_RKT_EUlibE_EEviT1_,"axG",@progbits,_ZN2at6native32elementwise_kernel_manual_unrollILi128ELi4EZNS0_15gpu_kernel_implIZZZNS0_12_GLOBAL__N_121bessel_y1_kernel_cudaERNS_18TensorIteratorBaseEENKUlvE_clEvENKUlvE0_clEvEUlfE_EEvS5_RKT_EUlibE_EEviT1_,comdat
.Lfunc_end21:
	.size	_ZN2at6native32elementwise_kernel_manual_unrollILi128ELi4EZNS0_15gpu_kernel_implIZZZNS0_12_GLOBAL__N_121bessel_y1_kernel_cudaERNS_18TensorIteratorBaseEENKUlvE_clEvENKUlvE0_clEvEUlfE_EEvS5_RKT_EUlibE_EEviT1_, .Lfunc_end21-_ZN2at6native32elementwise_kernel_manual_unrollILi128ELi4EZNS0_15gpu_kernel_implIZZZNS0_12_GLOBAL__N_121bessel_y1_kernel_cudaERNS_18TensorIteratorBaseEENKUlvE_clEvENKUlvE0_clEvEUlfE_EEvS5_RKT_EUlibE_EEviT1_
                                        ; -- End function
	.set _ZN2at6native32elementwise_kernel_manual_unrollILi128ELi4EZNS0_15gpu_kernel_implIZZZNS0_12_GLOBAL__N_121bessel_y1_kernel_cudaERNS_18TensorIteratorBaseEENKUlvE_clEvENKUlvE0_clEvEUlfE_EEvS5_RKT_EUlibE_EEviT1_.num_vgpr, max(28, .L_ZN2at6native6invokeIZZZNS0_12_GLOBAL__N_121bessel_y1_kernel_cudaERNS_18TensorIteratorBaseEENKUlvE_clEvENKUlvE0_clEvEUlfE_i15function_traitsIS7_EEENT1_11result_typeERKT_PrKPcPKT0_PKN3c1010ScalarTypeEi.num_vgpr)
	.set _ZN2at6native32elementwise_kernel_manual_unrollILi128ELi4EZNS0_15gpu_kernel_implIZZZNS0_12_GLOBAL__N_121bessel_y1_kernel_cudaERNS_18TensorIteratorBaseEENKUlvE_clEvENKUlvE0_clEvEUlfE_EEvS5_RKT_EUlibE_EEviT1_.num_agpr, max(0, .L_ZN2at6native6invokeIZZZNS0_12_GLOBAL__N_121bessel_y1_kernel_cudaERNS_18TensorIteratorBaseEENKUlvE_clEvENKUlvE0_clEvEUlfE_i15function_traitsIS7_EEENT1_11result_typeERKT_PrKPcPKT0_PKN3c1010ScalarTypeEi.num_agpr)
	.set _ZN2at6native32elementwise_kernel_manual_unrollILi128ELi4EZNS0_15gpu_kernel_implIZZZNS0_12_GLOBAL__N_121bessel_y1_kernel_cudaERNS_18TensorIteratorBaseEENKUlvE_clEvENKUlvE0_clEvEUlfE_EEvS5_RKT_EUlibE_EEviT1_.numbered_sgpr, max(52, .L_ZN2at6native6invokeIZZZNS0_12_GLOBAL__N_121bessel_y1_kernel_cudaERNS_18TensorIteratorBaseEENKUlvE_clEvENKUlvE0_clEvEUlfE_i15function_traitsIS7_EEENT1_11result_typeERKT_PrKPcPKT0_PKN3c1010ScalarTypeEi.numbered_sgpr)
	.set _ZN2at6native32elementwise_kernel_manual_unrollILi128ELi4EZNS0_15gpu_kernel_implIZZZNS0_12_GLOBAL__N_121bessel_y1_kernel_cudaERNS_18TensorIteratorBaseEENKUlvE_clEvENKUlvE0_clEvEUlfE_EEvS5_RKT_EUlibE_EEviT1_.num_named_barrier, max(0, .L_ZN2at6native6invokeIZZZNS0_12_GLOBAL__N_121bessel_y1_kernel_cudaERNS_18TensorIteratorBaseEENKUlvE_clEvENKUlvE0_clEvEUlfE_i15function_traitsIS7_EEENT1_11result_typeERKT_PrKPcPKT0_PKN3c1010ScalarTypeEi.num_named_barrier)
	.set _ZN2at6native32elementwise_kernel_manual_unrollILi128ELi4EZNS0_15gpu_kernel_implIZZZNS0_12_GLOBAL__N_121bessel_y1_kernel_cudaERNS_18TensorIteratorBaseEENKUlvE_clEvENKUlvE0_clEvEUlfE_EEvS5_RKT_EUlibE_EEviT1_.private_seg_size, 0+max(.L_ZN2at6native6invokeIZZZNS0_12_GLOBAL__N_121bessel_y1_kernel_cudaERNS_18TensorIteratorBaseEENKUlvE_clEvENKUlvE0_clEvEUlfE_i15function_traitsIS7_EEENT1_11result_typeERKT_PrKPcPKT0_PKN3c1010ScalarTypeEi.private_seg_size)
	.set _ZN2at6native32elementwise_kernel_manual_unrollILi128ELi4EZNS0_15gpu_kernel_implIZZZNS0_12_GLOBAL__N_121bessel_y1_kernel_cudaERNS_18TensorIteratorBaseEENKUlvE_clEvENKUlvE0_clEvEUlfE_EEvS5_RKT_EUlibE_EEviT1_.uses_vcc, or(1, .L_ZN2at6native6invokeIZZZNS0_12_GLOBAL__N_121bessel_y1_kernel_cudaERNS_18TensorIteratorBaseEENKUlvE_clEvENKUlvE0_clEvEUlfE_i15function_traitsIS7_EEENT1_11result_typeERKT_PrKPcPKT0_PKN3c1010ScalarTypeEi.uses_vcc)
	.set _ZN2at6native32elementwise_kernel_manual_unrollILi128ELi4EZNS0_15gpu_kernel_implIZZZNS0_12_GLOBAL__N_121bessel_y1_kernel_cudaERNS_18TensorIteratorBaseEENKUlvE_clEvENKUlvE0_clEvEUlfE_EEvS5_RKT_EUlibE_EEviT1_.uses_flat_scratch, or(0, .L_ZN2at6native6invokeIZZZNS0_12_GLOBAL__N_121bessel_y1_kernel_cudaERNS_18TensorIteratorBaseEENKUlvE_clEvENKUlvE0_clEvEUlfE_i15function_traitsIS7_EEENT1_11result_typeERKT_PrKPcPKT0_PKN3c1010ScalarTypeEi.uses_flat_scratch)
	.set _ZN2at6native32elementwise_kernel_manual_unrollILi128ELi4EZNS0_15gpu_kernel_implIZZZNS0_12_GLOBAL__N_121bessel_y1_kernel_cudaERNS_18TensorIteratorBaseEENKUlvE_clEvENKUlvE0_clEvEUlfE_EEvS5_RKT_EUlibE_EEviT1_.has_dyn_sized_stack, or(0, .L_ZN2at6native6invokeIZZZNS0_12_GLOBAL__N_121bessel_y1_kernel_cudaERNS_18TensorIteratorBaseEENKUlvE_clEvENKUlvE0_clEvEUlfE_i15function_traitsIS7_EEENT1_11result_typeERKT_PrKPcPKT0_PKN3c1010ScalarTypeEi.has_dyn_sized_stack)
	.set _ZN2at6native32elementwise_kernel_manual_unrollILi128ELi4EZNS0_15gpu_kernel_implIZZZNS0_12_GLOBAL__N_121bessel_y1_kernel_cudaERNS_18TensorIteratorBaseEENKUlvE_clEvENKUlvE0_clEvEUlfE_EEvS5_RKT_EUlibE_EEviT1_.has_recursion, or(0, .L_ZN2at6native6invokeIZZZNS0_12_GLOBAL__N_121bessel_y1_kernel_cudaERNS_18TensorIteratorBaseEENKUlvE_clEvENKUlvE0_clEvEUlfE_i15function_traitsIS7_EEENT1_11result_typeERKT_PrKPcPKT0_PKN3c1010ScalarTypeEi.has_recursion)
	.set _ZN2at6native32elementwise_kernel_manual_unrollILi128ELi4EZNS0_15gpu_kernel_implIZZZNS0_12_GLOBAL__N_121bessel_y1_kernel_cudaERNS_18TensorIteratorBaseEENKUlvE_clEvENKUlvE0_clEvEUlfE_EEvS5_RKT_EUlibE_EEviT1_.has_indirect_call, or(0, .L_ZN2at6native6invokeIZZZNS0_12_GLOBAL__N_121bessel_y1_kernel_cudaERNS_18TensorIteratorBaseEENKUlvE_clEvENKUlvE0_clEvEUlfE_i15function_traitsIS7_EEENT1_11result_typeERKT_PrKPcPKT0_PKN3c1010ScalarTypeEi.has_indirect_call)
	.section	.AMDGPU.csdata,"",@progbits
; Kernel info:
; codeLenInByte = 17036
; TotalNumSgprs: 58
; NumVgprs: 28
; NumAgprs: 0
; TotalNumVgprs: 28
; ScratchSize: 0
; MemoryBound: 0
; FloatMode: 240
; IeeeMode: 1
; LDSByteSize: 0 bytes/workgroup (compile time only)
; SGPRBlocks: 7
; VGPRBlocks: 3
; NumSGPRsForWavesPerEU: 58
; NumVGPRsForWavesPerEU: 28
; AccumOffset: 28
; Occupancy: 8
; WaveLimiterHint : 0
; COMPUTE_PGM_RSRC2:SCRATCH_EN: 0
; COMPUTE_PGM_RSRC2:USER_SGPR: 2
; COMPUTE_PGM_RSRC2:TRAP_HANDLER: 0
; COMPUTE_PGM_RSRC2:TGID_X_EN: 1
; COMPUTE_PGM_RSRC2:TGID_Y_EN: 0
; COMPUTE_PGM_RSRC2:TGID_Z_EN: 0
; COMPUTE_PGM_RSRC2:TIDIG_COMP_CNT: 0
; COMPUTE_PGM_RSRC3_GFX90A:ACCUM_OFFSET: 6
; COMPUTE_PGM_RSRC3_GFX90A:TG_SPLIT: 0
	.section	.text._ZN2at6native32elementwise_kernel_manual_unrollILi128ELi4EZNS0_15gpu_kernel_implIZZZNS0_12_GLOBAL__N_121bessel_y1_kernel_cudaERNS_18TensorIteratorBaseEENKUlvE_clEvENKUlvE0_clEvEUlfE_EEvS5_RKT_EUlibE0_EEviT1_,"axG",@progbits,_ZN2at6native32elementwise_kernel_manual_unrollILi128ELi4EZNS0_15gpu_kernel_implIZZZNS0_12_GLOBAL__N_121bessel_y1_kernel_cudaERNS_18TensorIteratorBaseEENKUlvE_clEvENKUlvE0_clEvEUlfE_EEvS5_RKT_EUlibE0_EEviT1_,comdat
	.globl	_ZN2at6native32elementwise_kernel_manual_unrollILi128ELi4EZNS0_15gpu_kernel_implIZZZNS0_12_GLOBAL__N_121bessel_y1_kernel_cudaERNS_18TensorIteratorBaseEENKUlvE_clEvENKUlvE0_clEvEUlfE_EEvS5_RKT_EUlibE0_EEviT1_ ; -- Begin function _ZN2at6native32elementwise_kernel_manual_unrollILi128ELi4EZNS0_15gpu_kernel_implIZZZNS0_12_GLOBAL__N_121bessel_y1_kernel_cudaERNS_18TensorIteratorBaseEENKUlvE_clEvENKUlvE0_clEvEUlfE_EEvS5_RKT_EUlibE0_EEviT1_
	.p2align	8
	.type	_ZN2at6native32elementwise_kernel_manual_unrollILi128ELi4EZNS0_15gpu_kernel_implIZZZNS0_12_GLOBAL__N_121bessel_y1_kernel_cudaERNS_18TensorIteratorBaseEENKUlvE_clEvENKUlvE0_clEvEUlfE_EEvS5_RKT_EUlibE0_EEviT1_,@function
_ZN2at6native32elementwise_kernel_manual_unrollILi128ELi4EZNS0_15gpu_kernel_implIZZZNS0_12_GLOBAL__N_121bessel_y1_kernel_cudaERNS_18TensorIteratorBaseEENKUlvE_clEvENKUlvE0_clEvEUlfE_EEvS5_RKT_EUlibE0_EEviT1_: ; @_ZN2at6native32elementwise_kernel_manual_unrollILi128ELi4EZNS0_15gpu_kernel_implIZZZNS0_12_GLOBAL__N_121bessel_y1_kernel_cudaERNS_18TensorIteratorBaseEENKUlvE_clEvENKUlvE0_clEvEUlfE_EEvS5_RKT_EUlibE0_EEviT1_
; %bb.0:
	s_load_dword s70, s[0:1], 0x0
	s_load_dword s33, s[0:1], 0x8
	s_add_u32 s34, s0, 8
	s_addc_u32 s35, s1, 0
	v_lshl_or_b32 v13, s2, 9, v0
	v_or_b32_e32 v16, 0x180, v13
	s_waitcnt lgkmcnt(0)
	s_add_i32 s72, s33, -1
	s_cmp_gt_u32 s72, 1
	v_cmp_le_i32_e32 vcc, s70, v16
	s_cselect_b64 s[42:43], -1, 0
	s_mov_b64 s[40:41], 0
	s_mov_b64 s[24:25], 0
	s_and_saveexec_b64 s[2:3], vcc
	s_xor_b64 s[44:45], exec, s[2:3]
	s_cbranch_execz .LBB22_1154
; %bb.1:
	v_mov_b32_e32 v0, 0
	global_load_ushort v0, v0, s[34:35] offset:345
	s_load_dwordx4 s[28:31], s[34:35], 0x4
	s_load_dwordx2 s[46:47], s[34:35], 0x14
	s_load_dwordx4 s[24:27], s[34:35], 0xc4
	s_load_dwordx4 s[20:23], s[34:35], 0x148
	s_cmp_lg_u32 s33, 0
	s_cselect_b64 s[52:53], -1, 0
	s_add_u32 s50, s34, 0xc4
	s_addc_u32 s51, s35, 0
	s_min_u32 s75, s72, 15
	s_cmp_gt_u32 s33, 1
	s_cselect_b64 s[48:49], -1, 0
	v_cmp_gt_i32_e32 vcc, s70, v13
	s_mov_b64 s[4:5], -1
	s_mov_b64 s[62:63], 0
	s_mov_b64 s[56:57], 0
	;; [unrolled: 1-line block ×3, first 2 shown]
	s_waitcnt vmcnt(0)
	v_readfirstlane_b32 s73, v0
	s_and_b32 s2, 0xffff, s73
	s_lshr_b32 s74, s2, 8
	s_and_saveexec_b64 s[58:59], vcc
	s_cbranch_execz .LBB22_283
; %bb.2:
	s_andn2_b64 vcc, exec, s[42:43]
	s_cbranch_vccnz .LBB22_8
; %bb.3:
	s_andn2_b64 vcc, exec, s[52:53]
	s_cbranch_vccnz .LBB22_9
; %bb.4:
	s_add_i32 s57, s75, 1
	s_cmp_eq_u32 s72, 2
	s_cbranch_scc1 .LBB22_10
; %bb.5:
	s_and_b32 s56, s57, 28
	s_mov_b32 s60, 0
	v_mov_b32_e32 v0, 0
	v_mov_b32_e32 v2, 0
	s_mov_b64 s[2:3], s[34:35]
	s_mov_b64 s[54:55], s[50:51]
	v_mov_b32_e32 v4, v13
.LBB22_6:                               ; =>This Inner Loop Header: Depth=1
	s_load_dwordx8 s[12:19], s[2:3], 0x4
	s_load_dwordx4 s[36:39], s[2:3], 0x24
	s_load_dwordx8 s[4:11], s[54:55], 0x0
	s_add_u32 s2, s2, 48
	s_addc_u32 s3, s3, 0
	s_waitcnt lgkmcnt(0)
	v_mul_hi_u32 v1, s13, v4
	v_add_u32_e32 v1, v4, v1
	v_lshrrev_b32_e32 v1, s14, v1
	v_mul_lo_u32 v3, v1, s12
	v_mul_hi_u32 v5, s16, v1
	v_sub_u32_e32 v3, v4, v3
	v_add_u32_e32 v4, v1, v5
	v_lshrrev_b32_e32 v4, s17, v4
	v_mul_lo_u32 v6, v4, s15
	v_mul_hi_u32 v7, s19, v4
	v_sub_u32_e32 v1, v1, v6
	v_add_u32_e32 v6, v4, v7
	v_mul_lo_u32 v5, v3, s5
	v_mul_lo_u32 v3, v3, s4
	v_mul_lo_u32 v7, v1, s7
	v_mul_lo_u32 v1, v1, s6
	v_lshrrev_b32_e32 v6, s36, v6
	v_add3_u32 v0, v3, v0, v1
	v_mul_hi_u32 v3, s38, v6
	v_add3_u32 v1, v5, v2, v7
	v_mul_lo_u32 v2, v6, s18
	v_add_u32_e32 v3, v6, v3
	v_sub_u32_e32 v2, v4, v2
	v_lshrrev_b32_e32 v4, s39, v3
	s_add_i32 s60, s60, 4
	v_mul_lo_u32 v3, v4, s37
	s_add_u32 s54, s54, 32
	v_sub_u32_e32 v3, v6, v3
	s_addc_u32 s55, s55, 0
	v_mul_lo_u32 v5, v2, s8
	v_mul_lo_u32 v2, v2, s9
	;; [unrolled: 1-line block ×4, first 2 shown]
	s_cmp_lg_u32 s56, s60
	v_add3_u32 v2, v2, v1, v3
	v_add3_u32 v0, v5, v0, v6
	s_cbranch_scc1 .LBB22_6
; %bb.7:
	v_mov_b32_e32 v1, v2
	s_branch .LBB22_11
.LBB22_8:
                                        ; implicit-def: $vgpr2
                                        ; implicit-def: $vgpr0
	s_branch .LBB22_15
.LBB22_9:
	v_mov_b32_e32 v2, 0
	v_mov_b32_e32 v0, 0
	s_branch .LBB22_14
.LBB22_10:
	v_mov_b32_e32 v0, 0
	s_mov_b32 s56, 0
	v_mov_b32_e32 v1, v0
                                        ; implicit-def: $vgpr2
	v_mov_b32_e32 v4, v13
.LBB22_11:
	s_and_b32 s6, s57, 3
	s_cmp_eq_u32 s6, 0
	s_cbranch_scc1 .LBB22_14
; %bb.12:
	s_lshl_b32 s2, s56, 3
	s_add_u32 s2, s34, s2
	s_addc_u32 s3, s35, 0
	s_add_u32 s2, s2, 0xc4
	s_addc_u32 s3, s3, 0
	s_mul_i32 s4, s56, 12
	s_add_u32 s4, s34, s4
	s_addc_u32 s5, s35, 0
.LBB22_13:                              ; =>This Inner Loop Header: Depth=1
	s_load_dwordx2 s[8:9], s[4:5], 0x4
	s_load_dword s7, s[4:5], 0xc
	s_load_dwordx2 s[10:11], s[2:3], 0x0
	v_mov_b32_e32 v2, v1
	s_add_u32 s4, s4, 12
	s_waitcnt lgkmcnt(0)
	v_mul_hi_u32 v1, s9, v4
	v_add_u32_e32 v1, v4, v1
	v_lshrrev_b32_e32 v1, s7, v1
	s_addc_u32 s5, s5, 0
	v_mul_lo_u32 v3, v1, s8
	s_add_u32 s2, s2, 8
	v_sub_u32_e32 v5, v4, v3
	s_addc_u32 s3, s3, 0
	s_add_i32 s6, s6, -1
	v_mov_b32_e32 v4, v1
	v_mad_u64_u32 v[2:3], s[8:9], v5, s11, v[2:3]
	v_mad_u64_u32 v[0:1], s[8:9], v5, s10, v[0:1]
	s_cmp_lg_u32 s6, 0
	v_mov_b32_e32 v1, v2
	s_cbranch_scc1 .LBB22_13
.LBB22_14:
	s_cbranch_execnz .LBB22_17
.LBB22_15:
	s_waitcnt lgkmcnt(0)
	v_mul_hi_u32 v0, s29, v13
	v_add_u32_e32 v0, v13, v0
	v_lshrrev_b32_e32 v1, s30, v0
	v_mul_lo_u32 v0, v1, s28
	v_sub_u32_e32 v0, v13, v0
	v_mul_lo_u32 v2, v0, s25
	s_andn2_b64 vcc, exec, s[48:49]
	v_mul_lo_u32 v0, v0, s24
	s_cbranch_vccnz .LBB22_17
; %bb.16:
	v_mul_hi_u32 v3, s46, v1
	v_add_u32_e32 v3, v1, v3
	v_lshrrev_b32_e32 v3, s47, v3
	v_mul_lo_u32 v3, v3, s31
	v_sub_u32_e32 v3, v1, v3
	v_mad_u64_u32 v[0:1], s[2:3], v3, s26, v[0:1]
	v_mad_u64_u32 v[2:3], s[2:3], v3, s27, v[2:3]
.LBB22_17:
	v_mov_b32_e32 v3, 0
	s_and_b32 s10, 0xffff, s74
	s_cmp_lt_i32 s10, 11
	s_waitcnt lgkmcnt(0)
	v_lshl_add_u64 v[2:3], s[22:23], 0, v[2:3]
	s_cbranch_scc1 .LBB22_24
; %bb.18:
	s_cmp_gt_i32 s10, 25
	s_cbranch_scc0 .LBB22_35
; %bb.19:
	s_cmp_gt_i32 s10, 28
	s_cbranch_scc0 .LBB22_52
	;; [unrolled: 3-line block ×4, first 2 shown]
; %bb.22:
	s_cmp_eq_u32 s10, 46
	s_mov_b64 s[4:5], 0
	s_cbranch_scc0 .LBB22_58
; %bb.23:
	global_load_dword v1, v[2:3], off
	s_mov_b64 s[2:3], -1
	s_mov_b64 s[8:9], 0
	s_waitcnt vmcnt(0)
	v_lshlrev_b32_e32 v1, 16, v1
	s_branch .LBB22_60
.LBB22_24:
	s_mov_b64 s[8:9], 0
                                        ; implicit-def: $vgpr1
	s_mov_b64 s[2:3], 0
	s_cbranch_execnz .LBB22_233
.LBB22_25:
	s_andn2_b64 vcc, exec, s[2:3]
	s_cbranch_vccnz .LBB22_280
.LBB22_26:
	s_mov_b32 s2, 0x40a00000
	s_waitcnt vmcnt(0)
	v_cmp_ge_f32_e32 vcc, s2, v1
                                        ; implicit-def: $vgpr2
	s_and_saveexec_b64 s[2:3], vcc
	s_xor_b64 s[4:5], exec, s[2:3]
	s_cbranch_execz .LBB22_32
; %bb.27:
	v_cmp_neq_f32_e32 vcc, 0, v1
	v_mov_b32_e32 v2, 0xff800000
	s_and_saveexec_b64 s[6:7], vcc
	s_cbranch_execz .LBB22_31
; %bb.28:
	v_cmp_nge_f32_e32 vcc, 0, v1
	v_mov_b32_e32 v2, 0x7fc00000
	s_and_saveexec_b64 s[10:11], vcc
	s_cbranch_execz .LBB22_30
; %bb.29:
	v_mul_f32_e32 v2, v1, v1
	v_mov_b32_e32 v3, 0x4414934d
	v_fmac_f32_e32 v3, 0, v2
	v_fmaak_f32 v3, v2, v3, 0x48660b06
	s_mov_b32 s2, 0x4e9695f3
	v_mul_f32_e32 v4, 0, v2
	v_mul_f32_e32 v5, v2, v3
	s_mov_b32 s3, 0x4c8c277d
	v_pk_add_f32 v[6:7], v[4:5], s[2:3]
	s_mov_b32 s2, 0xd316b96b
	s_mov_b32 s3, 0x508bc61d
	v_pk_fma_f32 v[6:7], v[2:3], v[6:7], s[2:3] op_sel_hi:[0,1,1]
	s_mov_b32 s2, 0x56d04aa6
	s_mov_b32 s3, 0x5461faf8
	v_pk_fma_f32 v[6:7], v[2:3], v[6:7], s[2:3] op_sel_hi:[0,1,1]
	;; [unrolled: 3-line block ×5, first 2 shown]
	v_div_scale_f32 v3, s[2:3], v7, v7, v6
	v_rcp_f32_e32 v8, v3
	s_mov_b32 s2, 0xce5691e2
	s_mov_b32 s3, 0x548a37dc
	v_fma_f32 v5, -v3, v8, 1.0
	v_fmac_f32_e32 v8, v5, v8
	v_div_scale_f32 v5, vcc, v6, v7, v6
	v_mul_f32_e32 v9, v5, v8
	v_fma_f32 v10, -v3, v9, v5
	v_fmac_f32_e32 v9, v10, v8
	v_fma_f32 v3, -v3, v9, v5
	v_mov_b32_e32 v5, 0x441b3589
	v_fmac_f32_e32 v5, 0, v2
	v_fmaak_f32 v5, v2, v5, 0x487af6d0
	v_fmaak_f32 v5, v2, v5, 0x4c9f4aa7
	v_fmaak_f32 v5, v2, v5, 0x50a509fc
	v_mul_f32_e32 v5, v2, v5
	v_pk_add_f32 v[4:5], v[4:5], s[2:3]
	s_mov_b32 s2, 0x52d295d0
	s_mov_b32 s3, 0x58325852
	v_pk_fma_f32 v[4:5], v[2:3], v[4:5], s[2:3] op_sel_hi:[0,1,1]
	s_mov_b32 s2, 0xd6845497
	s_mov_b32 s3, 0x5b9f0600
	v_pk_fma_f32 v[4:5], v[2:3], v[4:5], s[2:3] op_sel_hi:[0,1,1]
	s_mov_b32 s2, 0x59515a15
	s_mov_b32 s3, 0x5e93bcac
	v_pk_fma_f32 v[4:5], v[2:3], v[4:5], s[2:3] op_sel_hi:[0,1,1]
	v_div_scale_f32 v10, s[2:3], v5, v5, v4
	v_rcp_f32_e32 v11, v10
	v_div_fmas_f32 v3, v3, v8, v9
	v_div_fixup_f32 v6, v3, v7, v6
	s_mov_b32 s2, 0xc244dfb3
	v_fma_f32 v3, -v10, v11, 1.0
	v_fmac_f32_e32 v11, v3, v11
	v_div_scale_f32 v3, vcc, v4, v5, v4
	v_mul_f32_e32 v7, v3, v11
	v_fma_f32 v8, -v10, v7, v3
	v_fmac_f32_e32 v7, v8, v11
	v_fma_f32 v3, -v10, v7, v3
	v_div_fmas_f32 v3, v3, v11, v7
	v_div_fixup_f32 v3, v3, v5, v4
	s_mov_b32 s3, 0xc16ae95a
	v_mul_f32_e32 v4, v1, v3
	v_pk_add_f32 v[2:3], v[2:3], s[2:3] op_sel_hi:[0,1]
	s_mov_b32 s2, 0x800000
	v_cmp_gt_f32_e32 vcc, s2, v1
	v_mul_f32_e32 v3, v3, v4
	v_mul_f32_e32 v2, v2, v3
	v_cndmask_b32_e64 v5, 0, 32, vcc
	v_ldexp_f32 v5, v1, v5
	v_log_f32_e32 v5, v5
	s_mov_b32 s2, 0x3f317217
	v_mov_b32_e32 v7, 0x41b17218
	v_cndmask_b32_e32 v7, 0, v7, vcc
	v_mul_f32_e32 v3, 0x3f317217, v5
	v_fma_f32 v3, v5, s2, -v3
	v_fmamk_f32 v3, v5, 0x3377d1cf, v3
	s_mov_b32 s2, 0x7f800000
	v_fmac_f32_e32 v3, 0x3f317217, v5
	v_cmp_lt_f32_e64 s[2:3], |v5|, s2
	s_nop 1
	v_cndmask_b32_e64 v3, v5, v3, s[2:3]
	v_div_scale_f32 v4, s[2:3], v1, v1, -1.0
	v_rcp_f32_e32 v5, v4
	v_sub_f32_e32 v3, v3, v7
	v_fma_f32 v7, -v4, v5, 1.0
	v_fmac_f32_e32 v5, v7, v5
	v_div_scale_f32 v7, vcc, -1.0, v1, -1.0
	v_mul_f32_e32 v8, v7, v5
	v_fma_f32 v9, -v4, v8, v7
	v_fmac_f32_e32 v8, v9, v5
	v_fma_f32 v4, -v4, v8, v7
	v_div_fmas_f32 v4, v4, v5, v8
	v_div_fixup_f32 v4, v4, v1, -1.0
	v_fmac_f32_e32 v4, v3, v2
	v_mul_f32_e32 v2, 0x3f22f983, v4
	v_fmac_f32_e32 v2, v1, v6
.LBB22_30:
	s_or_b64 exec, exec, s[10:11]
.LBB22_31:
	s_or_b64 exec, exec, s[6:7]
                                        ; implicit-def: $vgpr1
.LBB22_32:
	s_andn2_saveexec_b64 s[10:11], s[4:5]
	s_cbranch_execz .LBB22_43
; %bb.33:
	v_add_f32_e32 v2, 0xc016cbe4, v1
	s_brev_b32 s2, 18
	v_and_b32_e32 v3, 0x7fffffff, v2
	v_cmp_nlt_f32_e64 s[12:13], |v2|, s2
                                        ; implicit-def: $vgpr4
                                        ; implicit-def: $vgpr5
	s_and_saveexec_b64 s[2:3], s[12:13]
	s_xor_b64 s[14:15], exec, s[2:3]
	s_cbranch_execz .LBB22_36
; %bb.34:
	v_lshrrev_b32_e32 v4, 23, v3
	v_add_u32_e32 v4, 0xffffff88, v4
	v_not_b32_e32 v5, 63
	v_cmp_lt_u32_e32 vcc, 63, v4
	s_mov_b32 s6, 0xfe5163ab
	v_mov_b32_e32 v7, 0
	v_cndmask_b32_e32 v5, 0, v5, vcc
	v_add_u32_e32 v4, v5, v4
	v_not_b32_e32 v5, 31
	v_cmp_lt_u32_e64 s[2:3], 31, v4
	s_nop 1
	v_cndmask_b32_e64 v6, 0, v5, s[2:3]
	v_add_u32_e32 v4, v6, v4
	v_cmp_lt_u32_e64 s[4:5], 31, v4
	s_nop 1
	v_cndmask_b32_e64 v5, 0, v5, s[4:5]
	v_add_u32_e32 v12, v5, v4
	v_and_b32_e32 v4, 0x7fffff, v3
	v_or_b32_e32 v20, 0x800000, v4
	v_mad_u64_u32 v[4:5], s[6:7], v20, s6, 0
	v_mov_b32_e32 v6, v5
	s_mov_b32 s6, 0x3c439041
	v_mad_u64_u32 v[8:9], s[6:7], v20, s6, v[6:7]
	v_mov_b32_e32 v6, v9
	s_mov_b32 s6, 0xdb629599
	;; [unrolled: 3-line block ×6, first 2 shown]
	v_mad_u64_u32 v[6:7], s[6:7], v20, s6, v[6:7]
	v_cndmask_b32_e32 v5, v18, v14, vcc
	v_cndmask_b32_e32 v6, v6, v16, vcc
	;; [unrolled: 1-line block ×3, first 2 shown]
	v_cndmask_b32_e64 v9, v6, v5, s[2:3]
	v_cndmask_b32_e64 v6, v7, v6, s[2:3]
	v_cndmask_b32_e32 v7, v16, v10, vcc
	v_cndmask_b32_e64 v5, v5, v7, s[2:3]
	v_cndmask_b32_e32 v8, v14, v8, vcc
	v_cndmask_b32_e64 v6, v6, v9, s[4:5]
	v_cndmask_b32_e64 v9, v9, v5, s[4:5]
	v_sub_u32_e32 v11, 32, v12
	v_cndmask_b32_e64 v7, v7, v8, s[2:3]
	v_alignbit_b32 v15, v6, v9, v11
	v_cmp_eq_u32_e64 s[6:7], 0, v12
	v_cndmask_b32_e64 v5, v5, v7, s[4:5]
	v_alignbit_b32 v12, v9, v5, v11
	v_cndmask_b32_e64 v6, v15, v6, s[6:7]
	v_cndmask_b32_e32 v4, v10, v4, vcc
	v_cndmask_b32_e64 v9, v12, v9, s[6:7]
	v_bfe_u32 v15, v6, 29, 1
	v_cndmask_b32_e64 v4, v8, v4, s[2:3]
	v_alignbit_b32 v12, v6, v9, 30
	v_sub_u32_e32 v16, 0, v15
	v_cndmask_b32_e64 v4, v7, v4, s[4:5]
	v_xor_b32_e32 v12, v12, v16
	v_alignbit_b32 v7, v5, v4, v11
	v_cndmask_b32_e64 v5, v7, v5, s[6:7]
	v_ffbh_u32_e32 v8, v12
	v_alignbit_b32 v7, v9, v5, 30
	v_min_u32_e32 v8, 32, v8
	v_alignbit_b32 v4, v5, v4, 30
	v_xor_b32_e32 v7, v7, v16
	v_sub_u32_e32 v9, 31, v8
	v_xor_b32_e32 v4, v4, v16
	v_alignbit_b32 v10, v12, v7, v9
	v_alignbit_b32 v4, v7, v4, v9
	;; [unrolled: 1-line block ×3, first 2 shown]
	v_ffbh_u32_e32 v7, v5
	v_min_u32_e32 v7, 32, v7
	v_lshrrev_b32_e32 v14, 29, v6
	v_not_b32_e32 v9, v7
	v_alignbit_b32 v4, v5, v4, v9
	v_lshlrev_b32_e32 v5, 31, v14
	v_or_b32_e32 v9, 0x33000000, v5
	v_add_lshl_u32 v7, v7, v8, 23
	v_lshrrev_b32_e32 v4, 9, v4
	v_sub_u32_e32 v7, v9, v7
	v_or_b32_e32 v5, 0.5, v5
	v_lshlrev_b32_e32 v8, 23, v8
	v_or_b32_e32 v4, v7, v4
	v_lshrrev_b32_e32 v7, 9, v10
	v_sub_u32_e32 v5, v5, v8
	v_or_b32_e32 v5, v7, v5
	s_mov_b32 s2, 0x3fc90fda
	v_mul_f32_e32 v7, 0x3fc90fda, v5
	v_fma_f32 v8, v5, s2, -v7
	v_fmamk_f32 v5, v5, 0x33a22168, v8
	v_fmac_f32_e32 v5, 0x3fc90fda, v4
	v_lshrrev_b32_e32 v4, 30, v6
	v_add_f32_e32 v5, v7, v5
	v_add_u32_e32 v4, v15, v4
	s_andn2_saveexec_b64 s[2:3], s[14:15]
	s_cbranch_execz .LBB22_38
	s_branch .LBB22_37
.LBB22_35:
	s_mov_b64 s[8:9], 0
	s_mov_b64 s[2:3], 0
                                        ; implicit-def: $vgpr1
	s_cbranch_execnz .LBB22_198
	s_branch .LBB22_232
.LBB22_36:
	s_andn2_saveexec_b64 s[2:3], s[14:15]
	s_cbranch_execz .LBB22_38
.LBB22_37:
	s_mov_b32 s4, 0x3f22f983
	v_mul_f32_e64 v4, |v2|, s4
	v_rndne_f32_e32 v5, v4
	s_mov_b32 s4, 0xbfc90fda
	v_cvt_i32_f32_e32 v4, v5
	v_fma_f32 v6, v5, s4, |v2|
	v_fmamk_f32 v6, v5, 0xb3a22168, v6
	v_fmamk_f32 v5, v5, 0xa7c234c4, v6
.LBB22_38:
	s_or_b64 exec, exec, s[2:3]
                                        ; implicit-def: $vgpr6
                                        ; implicit-def: $vgpr7
	s_and_saveexec_b64 s[2:3], s[12:13]
	s_xor_b64 s[12:13], exec, s[2:3]
	s_cbranch_execz .LBB22_40
; %bb.39:
	v_lshrrev_b32_e32 v6, 23, v3
	v_add_u32_e32 v6, 0xffffff88, v6
	v_not_b32_e32 v7, 63
	v_cmp_lt_u32_e32 vcc, 63, v6
	s_mov_b32 s6, 0xfe5163ab
	v_mov_b32_e32 v9, 0
	v_cndmask_b32_e32 v7, 0, v7, vcc
	v_add_u32_e32 v6, v7, v6
	v_not_b32_e32 v7, 31
	v_cmp_lt_u32_e64 s[2:3], 31, v6
	s_nop 1
	v_cndmask_b32_e64 v8, 0, v7, s[2:3]
	v_add_u32_e32 v6, v8, v6
	v_cmp_lt_u32_e64 s[4:5], 31, v6
	s_nop 1
	v_cndmask_b32_e64 v7, 0, v7, s[4:5]
	v_add_u32_e32 v12, v7, v6
	v_and_b32_e32 v6, 0x7fffff, v3
	v_or_b32_e32 v22, 0x800000, v6
	v_mad_u64_u32 v[6:7], s[6:7], v22, s6, 0
	v_mov_b32_e32 v8, v7
	s_mov_b32 s6, 0x3c439041
	v_mad_u64_u32 v[10:11], s[6:7], v22, s6, v[8:9]
	v_mov_b32_e32 v8, v11
	s_mov_b32 s6, 0xdb629599
	;; [unrolled: 3-line block ×6, first 2 shown]
	v_mad_u64_u32 v[8:9], s[6:7], v22, s6, v[8:9]
	v_cndmask_b32_e32 v7, v20, v16, vcc
	v_cndmask_b32_e32 v8, v8, v18, vcc
	v_cndmask_b32_e32 v9, v9, v20, vcc
	v_cndmask_b32_e64 v11, v8, v7, s[2:3]
	v_cndmask_b32_e64 v8, v9, v8, s[2:3]
	v_cndmask_b32_e32 v9, v18, v14, vcc
	v_cndmask_b32_e64 v7, v7, v9, s[2:3]
	v_cndmask_b32_e32 v10, v16, v10, vcc
	v_cndmask_b32_e64 v8, v8, v11, s[4:5]
	v_cndmask_b32_e64 v11, v11, v7, s[4:5]
	v_sub_u32_e32 v15, 32, v12
	v_cndmask_b32_e64 v9, v9, v10, s[2:3]
	v_alignbit_b32 v17, v8, v11, v15
	v_cmp_eq_u32_e64 s[6:7], 0, v12
	v_cndmask_b32_e64 v7, v7, v9, s[4:5]
	v_alignbit_b32 v12, v11, v7, v15
	v_cndmask_b32_e64 v8, v17, v8, s[6:7]
	v_cndmask_b32_e32 v6, v14, v6, vcc
	v_cndmask_b32_e64 v11, v12, v11, s[6:7]
	v_bfe_u32 v17, v8, 29, 1
	v_cndmask_b32_e64 v6, v10, v6, s[2:3]
	v_alignbit_b32 v12, v8, v11, 30
	v_sub_u32_e32 v18, 0, v17
	v_cndmask_b32_e64 v6, v9, v6, s[4:5]
	v_xor_b32_e32 v12, v12, v18
	v_alignbit_b32 v9, v7, v6, v15
	v_cndmask_b32_e64 v7, v9, v7, s[6:7]
	v_ffbh_u32_e32 v10, v12
	v_alignbit_b32 v9, v11, v7, 30
	v_min_u32_e32 v10, 32, v10
	v_alignbit_b32 v6, v7, v6, 30
	v_xor_b32_e32 v9, v9, v18
	v_sub_u32_e32 v11, 31, v10
	v_xor_b32_e32 v6, v6, v18
	v_alignbit_b32 v12, v12, v9, v11
	v_alignbit_b32 v6, v9, v6, v11
	;; [unrolled: 1-line block ×3, first 2 shown]
	v_ffbh_u32_e32 v9, v7
	v_min_u32_e32 v9, 32, v9
	v_lshrrev_b32_e32 v16, 29, v8
	v_not_b32_e32 v11, v9
	v_alignbit_b32 v6, v7, v6, v11
	v_lshlrev_b32_e32 v7, 31, v16
	v_or_b32_e32 v11, 0x33000000, v7
	v_add_lshl_u32 v9, v9, v10, 23
	v_lshrrev_b32_e32 v6, 9, v6
	v_sub_u32_e32 v9, v11, v9
	v_or_b32_e32 v7, 0.5, v7
	v_lshlrev_b32_e32 v10, 23, v10
	v_or_b32_e32 v6, v9, v6
	v_lshrrev_b32_e32 v9, 9, v12
	v_sub_u32_e32 v7, v7, v10
	v_or_b32_e32 v7, v9, v7
	s_mov_b32 s2, 0x3fc90fda
	v_mul_f32_e32 v9, 0x3fc90fda, v7
	v_fma_f32 v10, v7, s2, -v9
	v_fmamk_f32 v7, v7, 0x33a22168, v10
	v_fmac_f32_e32 v7, 0x3fc90fda, v6
	v_lshrrev_b32_e32 v6, 30, v8
	v_add_f32_e32 v7, v9, v7
	v_add_u32_e32 v6, v17, v6
	s_andn2_saveexec_b64 s[2:3], s[12:13]
	s_cbranch_execnz .LBB22_41
	s_branch .LBB22_42
.LBB22_40:
	s_andn2_saveexec_b64 s[2:3], s[12:13]
	s_cbranch_execz .LBB22_42
.LBB22_41:
	s_mov_b32 s4, 0x3f22f983
	v_mul_f32_e64 v6, |v2|, s4
	v_rndne_f32_e32 v7, v6
	s_mov_b32 s4, 0xbfc90fda
	v_cvt_i32_f32_e32 v6, v7
	v_fma_f32 v8, v7, s4, |v2|
	v_fmamk_f32 v8, v7, 0xb3a22168, v8
	v_fmamk_f32 v7, v7, 0xa7c234c4, v8
.LBB22_42:
	s_or_b64 exec, exec, s[2:3]
	s_mov_b32 s4, 0x40a00000
	v_div_scale_f32 v8, s[2:3], v1, v1, s4
	v_rcp_f32_e32 v9, v8
	v_div_scale_f32 v10, vcc, s4, v1, s4
	v_mov_b32_e32 v14, 0x42947983
	v_fma_f32 v11, -v8, v9, 1.0
	v_fmac_f32_e32 v9, v11, v9
	v_mul_f32_e32 v11, v10, v9
	v_fma_f32 v12, -v8, v11, v10
	v_fmac_f32_e32 v11, v12, v9
	v_fma_f32 v8, -v8, v11, v10
	v_div_fmas_f32 v8, v8, v9, v11
	v_div_fixup_f32 v8, v8, v1, s4
	v_mul_f32_e32 v9, v8, v8
	v_mov_b32_e32 v10, 0x3a47c962
	v_mov_b32_e32 v11, 0x3a15c4d9
	v_fmac_f32_e32 v10, 0, v9
	v_fmac_f32_e32 v11, 0, v9
	v_fmaak_f32 v10, v9, v10, 0x3d95ca45
	v_fmaak_f32 v11, v9, v11, 0x3d8cfeeb
	;; [unrolled: 1-line block ×8, first 2 shown]
	v_mov_b32_e32 v12, 0x3d513fd3
	v_fmaak_f32 v10, v9, v10, 0x40a6dd51
	v_fmaak_f32 v11, v9, v11, 0x40a6b6ea
	v_fmac_f32_e32 v12, 0, v9
	v_fma_f32 v11, v9, v11, 1.0
	v_fmaak_f32 v12, v9, v12, 0x409f6dae
	v_fmac_f32_e32 v14, 0, v9
	v_fma_f32 v10, v9, v10, 1.0
	v_fmaak_f32 v12, v9, v12, 0x4297a5cd
	v_fmaak_f32 v14, v9, v14, 0x44840e5d
	v_div_scale_f32 v15, s[2:3], v11, v11, v10
	v_fmaak_f32 v12, v9, v12, 0x43b763ca
	v_fmaak_f32 v14, v9, v14, 0x459bd349
	v_rcp_f32_e32 v16, v15
	v_fmaak_f32 v12, v9, v12, 0x4431b6ce
	v_fmaak_f32 v14, v9, v14, 0x46156947
	;; [unrolled: 1-line block ×8, first 2 shown]
	v_fma_f32 v14, -v15, v16, 1.0
	v_fmac_f32_e32 v16, v14, v16
	v_div_scale_f32 v14, vcc, v10, v11, v10
	v_mul_f32_e32 v17, v14, v16
	v_fma_f32 v18, -v15, v17, v14
	v_fmac_f32_e32 v17, v18, v16
	v_fma_f32 v14, -v15, v17, v14
	v_div_fmas_f32 v14, v14, v16, v17
	v_div_fixup_f32 v10, v14, v11, v10
	v_mul_f32_e32 v11, v5, v5
	v_mov_b32_e32 v14, 0x3c0881c4
	v_fmamk_f32 v15, v11, 0xb94c1982, v14
	v_fmaak_f32 v15, v11, v15, 0xbe2aaa9d
	v_mul_f32_e32 v15, v11, v15
	v_fmac_f32_e32 v5, v5, v15
	v_mov_b32_e32 v15, 0xbab64f3b
	v_fmamk_f32 v17, v11, 0x37d75334, v15
	v_fmaak_f32 v17, v11, v17, 0x3d2aabf7
	v_fmaak_f32 v17, v11, v17, 0xbf000004
	v_fma_f32 v11, v11, v17, 1.0
	v_and_b32_e32 v17, 1, v4
	v_lshlrev_b32_e32 v4, 30, v4
	v_cmp_eq_u32_e32 vcc, 0, v17
	v_and_b32_e32 v4, 0x80000000, v4
	v_xor_b32_e32 v3, v3, v2
	v_cndmask_b32_e32 v5, v11, v5, vcc
	v_xor_b32_e32 v3, v3, v4
	v_div_scale_f32 v4, s[2:3], v9, v9, v12
	v_xor_b32_e32 v3, v3, v5
	v_rcp_f32_e32 v5, v4
	s_movk_i32 s5, 0x1f8
	v_mov_b32_e32 v11, 0x7fc00000
	v_cmp_class_f32_e64 s[2:3], v2, s5
	v_mov_b32_e32 v16, 0xbe2aaa9d
	v_mov_b32_e32 v18, 0x3d2aabf7
	v_cndmask_b32_e64 v2, v11, v3, s[2:3]
	v_fma_f32 v3, -v4, v5, 1.0
	v_fmac_f32_e32 v5, v3, v5
	v_div_scale_f32 v3, vcc, v12, v9, v12
	v_mul_f32_e32 v17, v3, v5
	v_fma_f32 v20, -v4, v17, v3
	v_fmac_f32_e32 v17, v20, v5
	v_fma_f32 v3, -v4, v17, v3
	v_mul_f32_e32 v4, v7, v7
	v_fmac_f32_e32 v14, 0xb94c1982, v4
	v_fmac_f32_e32 v16, v4, v14
	;; [unrolled: 1-line block ×3, first 2 shown]
	v_mov_b32_e32 v19, 0xbf000004
	v_div_fmas_f32 v3, v3, v5, v17
	v_mul_f32_e32 v5, v4, v16
	v_fmac_f32_e32 v18, v4, v15
	v_fmac_f32_e32 v7, v7, v5
	v_fmac_f32_e32 v19, v4, v18
	v_and_b32_e32 v5, 1, v6
	v_fma_f32 v4, v4, v19, 1.0
	v_cmp_eq_u32_e32 vcc, 0, v5
	s_brev_b32 s4, 1
	v_lshlrev_b32_e32 v5, 30, v6
	v_cndmask_b32_e64 v4, -v7, v4, vcc
	v_bitop3_b32 v4, v5, v4, s4 bitop3:0x6c
	v_cndmask_b32_e64 v4, v11, v4, s[2:3]
	s_mov_b32 s2, 0xf800000
	v_mul_f32_e32 v5, 0x4f800000, v1
	v_cmp_gt_f32_e32 vcc, s2, v1
	v_div_fixup_f32 v3, v3, v9, v12
	v_mul_f32_e32 v3, v8, v3
	v_cndmask_b32_e32 v1, v1, v5, vcc
	v_sqrt_f32_e32 v5, v1
	v_mul_f32_e32 v3, v3, v4
	v_fmac_f32_e32 v3, v10, v2
	v_mul_f32_e32 v2, 0x3f4c422a, v3
	v_add_u32_e32 v3, -1, v5
	v_fma_f32 v4, -v3, v5, v1
	v_cmp_ge_f32_e64 s[2:3], 0, v4
	v_add_u32_e32 v4, 1, v5
	s_nop 0
	v_cndmask_b32_e64 v3, v5, v3, s[2:3]
	v_fma_f32 v5, -v4, v5, v1
	v_cmp_lt_f32_e64 s[2:3], 0, v5
	s_nop 1
	v_cndmask_b32_e64 v3, v3, v4, s[2:3]
	v_mul_f32_e32 v4, 0x37800000, v3
	v_cndmask_b32_e32 v3, v3, v4, vcc
	v_mov_b32_e32 v4, 0x260
	v_cmp_class_f32_e32 vcc, v1, v4
	s_nop 1
	v_cndmask_b32_e32 v1, v3, v1, vcc
	v_div_scale_f32 v3, s[2:3], v1, v1, v2
	v_rcp_f32_e32 v4, v3
	s_nop 0
	v_fma_f32 v5, -v3, v4, 1.0
	v_fmac_f32_e32 v4, v5, v4
	v_div_scale_f32 v5, vcc, v2, v1, v2
	v_mul_f32_e32 v6, v5, v4
	v_fma_f32 v7, -v3, v6, v5
	v_fmac_f32_e32 v6, v7, v4
	v_fma_f32 v3, -v3, v6, v5
	v_div_fmas_f32 v3, v3, v4, v6
	v_div_fixup_f32 v2, v3, v1, v2
.LBB22_43:
	s_or_b64 exec, exec, s[10:11]
	v_mov_b32_e32 v1, 0
	s_and_b32 s12, s73, 0xff
	s_cmp_lt_i32 s12, 11
	v_lshl_add_u64 v[0:1], s[20:21], 0, v[0:1]
	s_cbranch_scc1 .LBB22_50
; %bb.44:
	s_and_b32 s13, 0xffff, s12
	s_cmp_gt_i32 s13, 25
	s_cbranch_scc0 .LBB22_53
; %bb.45:
	s_cmp_gt_i32 s13, 28
	s_cbranch_scc0 .LBB22_55
; %bb.46:
	;; [unrolled: 3-line block ×4, first 2 shown]
	s_mov_b64 s[6:7], 0
	s_mov_b64 s[2:3], -1
	s_cmp_eq_u32 s13, 46
	s_mov_b64 s[4:5], 0
	s_cbranch_scc0 .LBB22_64
; %bb.49:
	v_bfe_u32 v3, v2, 16, 1
	s_movk_i32 s2, 0x7fff
	v_add3_u32 v3, v2, v3, s2
	v_cmp_o_f32_e32 vcc, v2, v2
	v_mov_b32_e32 v4, 0x7fc0
	s_mov_b64 s[4:5], -1
	v_cndmask_b32_sdwa v3, v4, v3, vcc dst_sel:DWORD dst_unused:UNUSED_PAD src0_sel:DWORD src1_sel:WORD_1
	global_store_dword v[0:1], v3, off
	s_mov_b64 s[2:3], 0
	s_branch .LBB22_64
.LBB22_50:
	s_mov_b64 s[2:3], 0
	s_mov_b64 s[4:5], 0
	s_cbranch_execnz .LBB22_133
.LBB22_51:
	s_andn2_b64 vcc, exec, s[4:5]
	s_cbranch_vccnz .LBB22_281
	s_branch .LBB22_171
.LBB22_52:
	s_mov_b64 s[4:5], -1
	s_mov_b64 s[8:9], 0
	s_mov_b64 s[2:3], 0
                                        ; implicit-def: $vgpr1
	s_branch .LBB22_179
.LBB22_53:
	s_mov_b64 s[6:7], -1
	s_mov_b64 s[2:3], 0
	s_mov_b64 s[4:5], 0
	s_branch .LBB22_91
.LBB22_54:
	s_mov_b64 s[4:5], -1
	s_mov_b64 s[8:9], 0
	s_mov_b64 s[2:3], 0
                                        ; implicit-def: $vgpr1
	s_branch .LBB22_174
.LBB22_55:
	s_mov_b64 s[6:7], -1
	s_mov_b64 s[2:3], 0
	s_mov_b64 s[4:5], 0
	s_branch .LBB22_74
.LBB22_56:
	s_mov_b64 s[4:5], -1
	s_mov_b64 s[8:9], 0
	s_branch .LBB22_59
.LBB22_57:
	s_mov_b64 s[6:7], -1
	s_mov_b64 s[2:3], 0
	s_mov_b64 s[4:5], 0
	s_branch .LBB22_70
.LBB22_58:
	s_mov_b64 s[8:9], -1
.LBB22_59:
	s_mov_b64 s[2:3], 0
                                        ; implicit-def: $vgpr1
.LBB22_60:
	s_and_b64 vcc, exec, s[4:5]
	s_cbranch_vccz .LBB22_173
; %bb.61:
	s_cmp_eq_u32 s10, 44
	s_cbranch_scc0 .LBB22_172
; %bb.62:
	global_load_ubyte v1, v[2:3], off
	s_movk_i32 s4, 0xff
	v_mov_b32_e32 v4, 0x7f800001
	v_mov_b32_e32 v5, 0x400000
	s_mov_b64 s[2:3], -1
	s_mov_b64 s[8:9], 0
	s_waitcnt vmcnt(0)
	v_lshlrev_b32_e32 v6, 23, v1
	v_cmp_ne_u32_e32 vcc, s4, v1
	s_nop 1
	v_cndmask_b32_e32 v4, v4, v6, vcc
	v_cmp_ne_u32_e32 vcc, 0, v1
	s_nop 1
	v_cndmask_b32_e32 v1, v5, v4, vcc
	s_branch .LBB22_173
.LBB22_63:
	s_mov_b64 s[6:7], -1
	s_mov_b64 s[2:3], 0
	s_mov_b64 s[4:5], 0
.LBB22_64:
	s_and_b64 vcc, exec, s[6:7]
	s_cbranch_vccz .LBB22_69
; %bb.65:
	s_cmp_eq_u32 s13, 44
	s_mov_b64 s[2:3], -1
	s_cbranch_scc0 .LBB22_69
; %bb.66:
	v_bfe_u32 v3, v2, 23, 8
	s_movk_i32 s2, 0xff
	v_cmp_ne_u32_e32 vcc, s2, v3
	v_mov_b32_e32 v4, 0xff
	s_and_saveexec_b64 s[4:5], vcc
; %bb.67:
	s_mov_b32 s2, 0x3fffff
	v_and_b32_e32 v5, 0x400000, v2
	v_and_or_b32 v3, v2, s2, v3
	v_cmp_ne_u32_e32 vcc, 0, v5
	v_cmp_ne_u32_e64 s[2:3], 0, v3
	s_and_b64 s[2:3], vcc, s[2:3]
	v_lshrrev_b32_e32 v4, 23, v2
	v_cndmask_b32_e64 v3, 0, 1, s[2:3]
	v_add_u32_e32 v4, v4, v3
; %bb.68:
	s_or_b64 exec, exec, s[4:5]
	s_mov_b64 s[4:5], -1
	s_mov_b64 s[2:3], 0
	global_store_byte v[0:1], v4, off
.LBB22_69:
	s_mov_b64 s[6:7], 0
.LBB22_70:
	s_and_b64 vcc, exec, s[6:7]
	s_cbranch_vccz .LBB22_73
; %bb.71:
	s_cmp_eq_u32 s13, 29
	s_mov_b64 s[2:3], -1
	s_cbranch_scc0 .LBB22_73
; %bb.72:
	v_trunc_f32_e32 v3, v2
	v_mul_f32_e32 v4, 0x2f800000, v3
	v_floor_f32_e32 v4, v4
	v_fmamk_f32 v3, v4, 0xcf800000, v3
	v_cvt_u32_f32_e32 v5, v4
	v_cvt_u32_f32_e32 v4, v3
	s_mov_b64 s[4:5], -1
	s_mov_b64 s[2:3], 0
	s_mov_b64 s[6:7], 0
	global_store_dwordx2 v[0:1], v[4:5], off
	s_branch .LBB22_74
.LBB22_73:
	s_mov_b64 s[6:7], 0
.LBB22_74:
	s_and_b64 vcc, exec, s[6:7]
	s_cbranch_vccz .LBB22_90
; %bb.75:
	s_cmp_lt_i32 s13, 27
	s_mov_b64 s[4:5], -1
	s_cbranch_scc1 .LBB22_81
; %bb.76:
	v_cvt_u32_f32_e32 v3, v2
	s_cmp_gt_i32 s13, 27
	s_cbranch_scc0 .LBB22_78
; %bb.77:
	s_mov_b64 s[4:5], 0
	global_store_dword v[0:1], v3, off
.LBB22_78:
	s_andn2_b64 vcc, exec, s[4:5]
	s_cbranch_vccnz .LBB22_80
; %bb.79:
	global_store_short v[0:1], v3, off
.LBB22_80:
	s_mov_b64 s[4:5], 0
.LBB22_81:
	s_andn2_b64 vcc, exec, s[4:5]
	s_cbranch_vccnz .LBB22_89
; %bb.82:
	v_and_b32_e32 v3, 0x7fffffff, v2
	s_mov_b32 s4, 0x43800000
	v_cmp_gt_u32_e32 vcc, s4, v3
	v_mov_b32_e32 v4, 0x80
	s_and_saveexec_b64 s[4:5], vcc
	s_cbranch_execz .LBB22_88
; %bb.83:
	s_mov_b32 s6, 0x3bffffff
	v_cmp_lt_u32_e32 vcc, s6, v3
	s_mov_b64 s[6:7], 0
                                        ; implicit-def: $vgpr3
	s_and_saveexec_b64 s[10:11], vcc
	s_xor_b64 s[10:11], exec, s[10:11]
	s_cbranch_execz .LBB22_341
; %bb.84:
	v_bfe_u32 v3, v2, 20, 1
	s_mov_b32 s14, 0x487ffff
	v_add3_u32 v3, v2, v3, s14
	s_mov_b64 s[6:7], exec
	v_lshrrev_b32_e32 v3, 20, v3
	s_andn2_saveexec_b64 s[10:11], s[10:11]
	s_cbranch_execnz .LBB22_342
.LBB22_85:
	s_or_b64 exec, exec, s[10:11]
	v_mov_b32_e32 v4, 0
	s_and_saveexec_b64 s[10:11], s[6:7]
.LBB22_86:
	v_lshrrev_b32_e32 v4, 24, v2
	s_movk_i32 s6, 0x80
	v_and_or_b32 v4, v4, s6, v3
.LBB22_87:
	s_or_b64 exec, exec, s[10:11]
.LBB22_88:
	s_or_b64 exec, exec, s[4:5]
	global_store_byte v[0:1], v4, off
.LBB22_89:
	s_mov_b64 s[4:5], -1
.LBB22_90:
	s_mov_b64 s[6:7], 0
.LBB22_91:
	s_and_b64 vcc, exec, s[6:7]
	s_cbranch_vccz .LBB22_132
; %bb.92:
	s_cmp_gt_i32 s13, 22
	s_mov_b64 s[6:7], -1
	s_cbranch_scc0 .LBB22_124
; %bb.93:
	s_cmp_lt_i32 s13, 24
	s_mov_b64 s[4:5], -1
	s_cbranch_scc1 .LBB22_113
; %bb.94:
	s_cmp_gt_i32 s13, 24
	s_cbranch_scc0 .LBB22_102
; %bb.95:
	v_and_b32_e32 v3, 0x7fffffff, v2
	s_mov_b32 s4, 0x47800000
	v_cmp_gt_u32_e32 vcc, s4, v3
	v_mov_b32_e32 v4, 0x80
	s_and_saveexec_b64 s[4:5], vcc
	s_cbranch_execz .LBB22_101
; %bb.96:
	s_mov_b32 s6, 0x37ffffff
	v_cmp_lt_u32_e32 vcc, s6, v3
	s_mov_b64 s[6:7], 0
                                        ; implicit-def: $vgpr3
	s_and_saveexec_b64 s[10:11], vcc
	s_xor_b64 s[10:11], exec, s[10:11]
	s_cbranch_execz .LBB22_345
; %bb.97:
	v_bfe_u32 v3, v2, 21, 1
	s_mov_b32 s14, 0x88fffff
	v_add3_u32 v3, v2, v3, s14
	s_mov_b64 s[6:7], exec
	v_lshrrev_b32_e32 v3, 21, v3
	s_andn2_saveexec_b64 s[10:11], s[10:11]
	s_cbranch_execnz .LBB22_346
.LBB22_98:
	s_or_b64 exec, exec, s[10:11]
	v_mov_b32_e32 v4, 0
	s_and_saveexec_b64 s[10:11], s[6:7]
.LBB22_99:
	v_lshrrev_b32_e32 v4, 24, v2
	s_movk_i32 s6, 0x80
	v_and_or_b32 v4, v4, s6, v3
.LBB22_100:
	s_or_b64 exec, exec, s[10:11]
.LBB22_101:
	s_or_b64 exec, exec, s[4:5]
	s_mov_b64 s[4:5], 0
	global_store_byte v[0:1], v4, off
.LBB22_102:
	s_and_b64 vcc, exec, s[4:5]
	s_cbranch_vccz .LBB22_112
; %bb.103:
	v_and_b32_e32 v4, 0x7fffffff, v2
	s_mov_b32 s4, 0x43f00000
	v_cmp_gt_u32_e32 vcc, s4, v4
                                        ; implicit-def: $vgpr3
	s_and_saveexec_b64 s[4:5], vcc
	s_xor_b64 s[4:5], exec, s[4:5]
	s_cbranch_execz .LBB22_109
; %bb.104:
	s_mov_b32 s6, 0x3c7fffff
	v_cmp_lt_u32_e32 vcc, s6, v4
                                        ; implicit-def: $vgpr3
	s_and_saveexec_b64 s[6:7], vcc
	s_xor_b64 s[6:7], exec, s[6:7]
; %bb.105:
	v_bfe_u32 v3, v2, 20, 1
	s_mov_b32 s10, 0x407ffff
	v_add3_u32 v3, v2, v3, s10
	v_lshrrev_b32_e32 v4, 20, v3
	v_and_b32_e32 v3, 0xff00000, v3
	s_mov_b32 s10, 0x7f00000
	v_mov_b32_e32 v5, 0x7e
	v_cmp_ne_u32_e32 vcc, s10, v3
	s_nop 1
	v_cndmask_b32_e32 v3, v5, v4, vcc
; %bb.106:
	s_andn2_saveexec_b64 s[6:7], s[6:7]
; %bb.107:
	s_mov_b32 s10, 0x46800000
	v_add_f32_e64 v3, |v2|, s10
; %bb.108:
	s_or_b64 exec, exec, s[6:7]
                                        ; implicit-def: $vgpr4
.LBB22_109:
	s_andn2_saveexec_b64 s[4:5], s[4:5]
; %bb.110:
	s_mov_b32 s6, 0x7f800000
	v_mov_b32_e32 v3, 0x7e
	v_mov_b32_e32 v5, 0x7f
	v_cmp_lt_u32_e32 vcc, s6, v4
	s_nop 1
	v_cndmask_b32_e32 v3, v3, v5, vcc
; %bb.111:
	s_or_b64 exec, exec, s[4:5]
	v_lshrrev_b32_e32 v4, 24, v2
	s_movk_i32 s4, 0x80
	v_and_or_b32 v3, v4, s4, v3
	global_store_byte v[0:1], v3, off
.LBB22_112:
	s_mov_b64 s[4:5], 0
.LBB22_113:
	s_andn2_b64 vcc, exec, s[4:5]
	s_cbranch_vccnz .LBB22_123
; %bb.114:
	v_and_b32_e32 v4, 0x7fffffff, v2
	s_mov_b32 s4, 0x47800000
	v_cmp_gt_u32_e32 vcc, s4, v4
                                        ; implicit-def: $vgpr3
	s_and_saveexec_b64 s[4:5], vcc
	s_xor_b64 s[4:5], exec, s[4:5]
	s_cbranch_execz .LBB22_120
; %bb.115:
	s_mov_b32 s6, 0x387fffff
	v_cmp_lt_u32_e32 vcc, s6, v4
                                        ; implicit-def: $vgpr3
	s_and_saveexec_b64 s[6:7], vcc
	s_xor_b64 s[6:7], exec, s[6:7]
; %bb.116:
	v_bfe_u32 v3, v2, 21, 1
	s_mov_b32 s10, 0x80fffff
	v_add3_u32 v3, v2, v3, s10
	v_lshrrev_b32_e32 v3, 21, v3
; %bb.117:
	s_andn2_saveexec_b64 s[6:7], s[6:7]
; %bb.118:
	s_mov_b32 s10, 0x43000000
	v_add_f32_e64 v3, |v2|, s10
; %bb.119:
	s_or_b64 exec, exec, s[6:7]
                                        ; implicit-def: $vgpr4
.LBB22_120:
	s_andn2_saveexec_b64 s[4:5], s[4:5]
; %bb.121:
	s_mov_b32 s6, 0x7f800000
	v_mov_b32_e32 v3, 0x7c
	v_mov_b32_e32 v5, 0x7f
	v_cmp_lt_u32_e32 vcc, s6, v4
	s_nop 1
	v_cndmask_b32_e32 v3, v3, v5, vcc
; %bb.122:
	s_or_b64 exec, exec, s[4:5]
	v_lshrrev_b32_e32 v4, 24, v2
	s_movk_i32 s4, 0x80
	v_and_or_b32 v3, v4, s4, v3
	global_store_byte v[0:1], v3, off
.LBB22_123:
	s_mov_b64 s[6:7], 0
	s_mov_b64 s[4:5], -1
.LBB22_124:
	s_andn2_b64 vcc, exec, s[6:7]
	s_cbranch_vccnz .LBB22_132
; %bb.125:
	s_cmp_gt_i32 s13, 14
	s_mov_b64 s[6:7], -1
	s_cbranch_scc0 .LBB22_129
; %bb.126:
	s_cmp_eq_u32 s13, 15
	s_mov_b64 s[2:3], -1
	s_cbranch_scc0 .LBB22_128
; %bb.127:
	v_bfe_u32 v3, v2, 16, 1
	s_movk_i32 s2, 0x7fff
	v_add3_u32 v3, v2, v3, s2
	v_cmp_o_f32_e32 vcc, v2, v2
	v_mov_b32_e32 v4, 0x7fc0
	s_mov_b64 s[4:5], -1
	v_cndmask_b32_sdwa v3, v4, v3, vcc dst_sel:DWORD dst_unused:UNUSED_PAD src0_sel:DWORD src1_sel:WORD_1
	global_store_short v[0:1], v3, off
	s_mov_b64 s[2:3], 0
.LBB22_128:
	s_mov_b64 s[6:7], 0
.LBB22_129:
	s_and_b64 vcc, exec, s[6:7]
	s_cbranch_vccz .LBB22_132
; %bb.130:
	s_cmp_eq_u32 s13, 11
	s_mov_b64 s[2:3], -1
	s_cbranch_scc0 .LBB22_132
; %bb.131:
	v_cmp_neq_f32_e32 vcc, 0, v2
	s_mov_b64 s[4:5], -1
	s_mov_b64 s[2:3], 0
	v_cndmask_b32_e64 v3, 0, 1, vcc
	global_store_byte v[0:1], v3, off
.LBB22_132:
	s_branch .LBB22_51
.LBB22_133:
	s_and_b32 s6, 0xffff, s12
	s_cmp_lt_i32 s6, 5
	s_mov_b64 s[4:5], -1
	s_cbranch_scc1 .LBB22_154
; %bb.134:
	s_cmp_lt_i32 s6, 8
	s_cbranch_scc1 .LBB22_144
; %bb.135:
	s_cmp_lt_i32 s6, 9
	s_cbranch_scc1 .LBB22_141
; %bb.136:
	s_cmp_gt_i32 s6, 9
	s_cbranch_scc0 .LBB22_138
; %bb.137:
	v_mov_b32_e32 v6, 0
	v_cvt_f64_f32_e32 v[4:5], v2
	v_mov_b32_e32 v7, v6
	global_store_dwordx4 v[0:1], v[4:7], off
	s_mov_b64 s[4:5], 0
.LBB22_138:
	s_andn2_b64 vcc, exec, s[4:5]
	s_cbranch_vccnz .LBB22_140
; %bb.139:
	v_mov_b32_e32 v3, 0
	global_store_dwordx2 v[0:1], v[2:3], off
.LBB22_140:
	s_mov_b64 s[4:5], 0
.LBB22_141:
	s_andn2_b64 vcc, exec, s[4:5]
	s_cbranch_vccnz .LBB22_143
; %bb.142:
	v_cvt_f16_f32_e32 v3, v2
	global_store_dword v[0:1], v3, off
.LBB22_143:
	s_mov_b64 s[4:5], 0
.LBB22_144:
	s_andn2_b64 vcc, exec, s[4:5]
	s_cbranch_vccnz .LBB22_153
; %bb.145:
	s_cmp_lt_i32 s6, 6
	s_mov_b64 s[4:5], -1
	s_cbranch_scc1 .LBB22_151
; %bb.146:
	s_cmp_gt_i32 s6, 6
	s_cbranch_scc0 .LBB22_148
; %bb.147:
	v_cvt_f64_f32_e32 v[4:5], v2
	global_store_dwordx2 v[0:1], v[4:5], off
	s_mov_b64 s[4:5], 0
.LBB22_148:
	s_andn2_b64 vcc, exec, s[4:5]
	s_cbranch_vccnz .LBB22_150
; %bb.149:
	global_store_dword v[0:1], v2, off
.LBB22_150:
	s_mov_b64 s[4:5], 0
.LBB22_151:
	s_andn2_b64 vcc, exec, s[4:5]
	s_cbranch_vccnz .LBB22_153
; %bb.152:
	v_cvt_f16_f32_e32 v3, v2
	global_store_short v[0:1], v3, off
.LBB22_153:
	s_mov_b64 s[4:5], 0
.LBB22_154:
	s_andn2_b64 vcc, exec, s[4:5]
	s_cbranch_vccnz .LBB22_170
; %bb.155:
	s_cmp_lt_i32 s6, 2
	s_mov_b64 s[4:5], -1
	s_cbranch_scc1 .LBB22_165
; %bb.156:
	s_cmp_lt_i32 s6, 3
	s_cbranch_scc1 .LBB22_162
; %bb.157:
	s_cmp_gt_i32 s6, 3
	s_cbranch_scc0 .LBB22_159
; %bb.158:
	v_trunc_f32_e32 v3, v2
	s_mov_b32 s4, 0x2f800000
	v_mul_f32_e64 v4, |v3|, s4
	v_floor_f32_e32 v4, v4
	s_mov_b32 s4, 0xcf800000
	v_cvt_u32_f32_e32 v5, v4
	v_fma_f32 v4, v4, s4, |v3|
	v_cvt_u32_f32_e32 v4, v4
	v_ashrrev_i32_e32 v3, 31, v3
	v_xor_b32_e32 v5, v5, v3
	s_mov_b64 s[4:5], 0
	v_xor_b32_e32 v4, v4, v3
	v_sub_co_u32_e32 v4, vcc, v4, v3
	s_nop 1
	v_subb_co_u32_e32 v5, vcc, v5, v3, vcc
	global_store_dwordx2 v[0:1], v[4:5], off
.LBB22_159:
	s_andn2_b64 vcc, exec, s[4:5]
	s_cbranch_vccnz .LBB22_161
; %bb.160:
	v_cvt_i32_f32_e32 v3, v2
	global_store_dword v[0:1], v3, off
.LBB22_161:
	s_mov_b64 s[4:5], 0
.LBB22_162:
	s_andn2_b64 vcc, exec, s[4:5]
	s_cbranch_vccnz .LBB22_164
; %bb.163:
	v_cvt_i32_f32_e32 v3, v2
	global_store_short v[0:1], v3, off
.LBB22_164:
	s_mov_b64 s[4:5], 0
.LBB22_165:
	s_andn2_b64 vcc, exec, s[4:5]
	s_cbranch_vccnz .LBB22_170
; %bb.166:
	s_cmp_gt_i32 s6, 0
	s_mov_b64 s[4:5], -1
	s_cbranch_scc0 .LBB22_168
; %bb.167:
	v_cvt_i32_f32_e32 v3, v2
	s_mov_b64 s[4:5], 0
	global_store_byte v[0:1], v3, off
.LBB22_168:
	s_andn2_b64 vcc, exec, s[4:5]
	s_cbranch_vccnz .LBB22_170
; %bb.169:
	v_trunc_f32_e32 v2, v2
	s_mov_b32 s4, 0x2f800000
	v_mul_f32_e64 v3, |v2|, s4
	v_floor_f32_e32 v3, v3
	s_mov_b32 s4, 0xcf800000
	v_fma_f32 v3, v3, s4, |v2|
	v_cvt_u32_f32_e32 v3, v3
	v_ashrrev_i32_e32 v2, 31, v2
	v_xor_b32_e32 v3, v3, v2
	v_sub_u32_e32 v2, v3, v2
	global_store_byte v[0:1], v2, off
.LBB22_170:
.LBB22_171:
	v_add_u32_e32 v13, 0x80, v13
	s_mov_b64 s[4:5], -1
	s_branch .LBB22_282
.LBB22_172:
	s_mov_b64 s[8:9], -1
                                        ; implicit-def: $vgpr1
.LBB22_173:
	s_mov_b64 s[4:5], 0
.LBB22_174:
	s_and_b64 vcc, exec, s[4:5]
	s_cbranch_vccz .LBB22_178
; %bb.175:
	s_cmp_eq_u32 s10, 29
	s_cbranch_scc0 .LBB22_177
; %bb.176:
	global_load_dwordx2 v[4:5], v[2:3], off
	s_mov_b64 s[2:3], -1
	s_mov_b64 s[8:9], 0
	s_mov_b64 s[4:5], 0
	s_waitcnt vmcnt(0)
	v_ffbh_u32_e32 v1, v5
	v_min_u32_e32 v1, 32, v1
	v_lshlrev_b64 v[4:5], v1, v[4:5]
	v_min_u32_e32 v4, 1, v4
	v_or_b32_e32 v4, v5, v4
	v_cvt_f32_u32_e32 v4, v4
	v_sub_u32_e32 v1, 32, v1
	v_ldexp_f32 v1, v4, v1
	s_branch .LBB22_179
.LBB22_177:
	s_mov_b64 s[8:9], -1
                                        ; implicit-def: $vgpr1
.LBB22_178:
	s_mov_b64 s[4:5], 0
.LBB22_179:
	s_and_b64 vcc, exec, s[4:5]
	s_cbranch_vccz .LBB22_197
; %bb.180:
	s_cmp_lt_i32 s10, 27
	s_cbranch_scc1 .LBB22_183
; %bb.181:
	s_cmp_gt_i32 s10, 27
	s_cbranch_scc0 .LBB22_184
; %bb.182:
	global_load_dword v1, v[2:3], off
	s_mov_b64 s[2:3], 0
	s_waitcnt vmcnt(0)
	v_cvt_f32_u32_e32 v1, v1
	s_branch .LBB22_185
.LBB22_183:
	s_mov_b64 s[2:3], -1
                                        ; implicit-def: $vgpr1
	s_branch .LBB22_188
.LBB22_184:
	s_mov_b64 s[2:3], -1
                                        ; implicit-def: $vgpr1
.LBB22_185:
	s_andn2_b64 vcc, exec, s[2:3]
	s_cbranch_vccnz .LBB22_187
; %bb.186:
	global_load_ushort v1, v[2:3], off
	s_waitcnt vmcnt(0)
	v_cvt_f32_u32_e32 v1, v1
.LBB22_187:
	s_mov_b64 s[2:3], 0
.LBB22_188:
	s_andn2_b64 vcc, exec, s[2:3]
	s_cbranch_vccnz .LBB22_196
; %bb.189:
	global_load_ubyte v4, v[2:3], off
	s_movk_i32 s2, 0x7f
	s_waitcnt vmcnt(0)
	v_cmp_lt_i16_e32 vcc, s2, v4
	s_mov_b64 s[2:3], 0
	s_and_saveexec_b64 s[4:5], vcc
	s_xor_b64 s[4:5], exec, s[4:5]
	s_cbranch_execz .LBB22_209
; %bb.190:
	s_movk_i32 s2, 0x80
	v_cmp_eq_u16_e32 vcc, s2, v4
	s_mov_b64 s[2:3], -1
	s_and_saveexec_b64 s[6:7], vcc
; %bb.191:
	s_xor_b64 s[2:3], exec, -1
; %bb.192:
	s_or_b64 exec, exec, s[6:7]
	s_and_b64 s[2:3], s[2:3], exec
	s_or_saveexec_b64 s[4:5], s[4:5]
	v_mov_b32_e32 v1, 0x7f800001
	s_xor_b64 exec, exec, s[4:5]
	s_cbranch_execnz .LBB22_210
.LBB22_193:
	s_or_b64 exec, exec, s[4:5]
	s_and_saveexec_b64 s[4:5], s[2:3]
	s_cbranch_execz .LBB22_195
.LBB22_194:
	v_lshlrev_b32_e32 v1, 24, v4
	v_and_b32_e32 v4, 0xffff, v4
	v_and_b32_e32 v5, 7, v4
	v_ffbh_u32_e32 v7, v5
	v_min_u32_e32 v7, 32, v7
	v_subrev_u32_e32 v8, 28, v7
	v_bfe_u32 v6, v4, 3, 4
	v_lshlrev_b32_e32 v4, v8, v4
	v_sub_u32_e32 v7, 29, v7
	v_and_b32_e32 v4, 7, v4
	v_cmp_eq_u32_e32 vcc, 0, v6
	v_and_b32_e32 v1, 0x80000000, v1
	s_nop 0
	v_cndmask_b32_e32 v6, v6, v7, vcc
	v_cndmask_b32_e32 v4, v5, v4, vcc
	v_mov_b32_e32 v5, 0x3b800000
	v_lshlrev_b32_e32 v4, 20, v4
	v_lshl_add_u32 v5, v6, 23, v5
	v_or3_b32 v1, v1, v5, v4
.LBB22_195:
	s_or_b64 exec, exec, s[4:5]
.LBB22_196:
	s_mov_b64 s[2:3], -1
.LBB22_197:
	s_branch .LBB22_232
.LBB22_198:
	s_cmp_gt_i32 s10, 22
	s_cbranch_scc0 .LBB22_208
; %bb.199:
	s_cmp_lt_i32 s10, 24
	s_cbranch_scc1 .LBB22_211
; %bb.200:
	s_cmp_gt_i32 s10, 24
	s_cbranch_scc0 .LBB22_212
; %bb.201:
	global_load_ubyte v4, v[2:3], off
	s_movk_i32 s2, 0x7f
	s_waitcnt vmcnt(0)
	v_cmp_lt_i16_e32 vcc, s2, v4
	s_mov_b64 s[2:3], 0
	s_and_saveexec_b64 s[4:5], vcc
	s_xor_b64 s[4:5], exec, s[4:5]
	s_cbranch_execz .LBB22_224
; %bb.202:
	s_movk_i32 s2, 0x80
	v_cmp_eq_u16_e32 vcc, s2, v4
	s_mov_b64 s[2:3], -1
	s_and_saveexec_b64 s[6:7], vcc
; %bb.203:
	s_xor_b64 s[2:3], exec, -1
; %bb.204:
	s_or_b64 exec, exec, s[6:7]
	s_and_b64 s[2:3], s[2:3], exec
	s_or_saveexec_b64 s[4:5], s[4:5]
	v_mov_b32_e32 v1, 0x7f800001
	s_xor_b64 exec, exec, s[4:5]
	s_cbranch_execnz .LBB22_225
.LBB22_205:
	s_or_b64 exec, exec, s[4:5]
	s_and_saveexec_b64 s[4:5], s[2:3]
	s_cbranch_execz .LBB22_207
.LBB22_206:
	v_lshlrev_b32_e32 v1, 24, v4
	v_and_b32_e32 v4, 0xffff, v4
	v_and_b32_e32 v5, 3, v4
	v_ffbh_u32_e32 v7, v5
	v_min_u32_e32 v7, 32, v7
	v_subrev_u32_e32 v8, 29, v7
	v_bfe_u32 v6, v4, 2, 5
	v_lshlrev_b32_e32 v4, v8, v4
	v_sub_u32_e32 v7, 30, v7
	v_and_b32_e32 v4, 3, v4
	v_cmp_eq_u32_e32 vcc, 0, v6
	v_and_b32_e32 v1, 0x80000000, v1
	s_nop 0
	v_cndmask_b32_e32 v6, v6, v7, vcc
	v_cndmask_b32_e32 v4, v5, v4, vcc
	v_mov_b32_e32 v5, 0x37800000
	v_lshlrev_b32_e32 v4, 21, v4
	v_lshl_add_u32 v5, v6, 23, v5
	v_or3_b32 v1, v1, v5, v4
.LBB22_207:
	s_or_b64 exec, exec, s[4:5]
	s_mov_b64 s[2:3], 0
	s_branch .LBB22_213
.LBB22_208:
	s_mov_b64 s[4:5], -1
                                        ; implicit-def: $vgpr1
	s_branch .LBB22_219
.LBB22_209:
	s_or_saveexec_b64 s[4:5], s[4:5]
	v_mov_b32_e32 v1, 0x7f800001
	s_xor_b64 exec, exec, s[4:5]
	s_cbranch_execz .LBB22_193
.LBB22_210:
	v_cmp_ne_u16_e32 vcc, 0, v4
	s_andn2_b64 s[2:3], s[2:3], exec
	s_and_b64 s[6:7], vcc, exec
	v_mov_b32_e32 v1, 0
	s_or_b64 s[2:3], s[2:3], s[6:7]
	s_or_b64 exec, exec, s[4:5]
	s_and_saveexec_b64 s[4:5], s[2:3]
	s_cbranch_execnz .LBB22_194
	s_branch .LBB22_195
.LBB22_211:
	s_mov_b64 s[2:3], -1
                                        ; implicit-def: $vgpr1
	s_branch .LBB22_216
.LBB22_212:
	s_mov_b64 s[2:3], -1
                                        ; implicit-def: $vgpr1
.LBB22_213:
	s_and_b64 vcc, exec, s[2:3]
	s_cbranch_vccz .LBB22_215
; %bb.214:
	global_load_ubyte v1, v[2:3], off
	s_mov_b32 s2, 0x7f800000
	s_waitcnt vmcnt(0)
	v_lshlrev_b32_e32 v1, 24, v1
	v_and_b32_e32 v4, 0x7f000000, v1
	v_ffbh_u32_e32 v5, v4
	v_min_u32_e32 v5, 32, v5
	v_sub_u32_e64 v5, v5, 4 clamp
	v_lshlrev_b32_e32 v7, v5, v4
	v_lshlrev_b32_e32 v5, 23, v5
	v_lshrrev_b32_e32 v7, 4, v7
	v_add_u32_e32 v6, 0x1000000, v4
	v_sub_u32_e32 v5, v7, v5
	v_ashrrev_i32_e32 v6, 8, v6
	v_add_u32_e32 v5, 0x3c000000, v5
	v_and_or_b32 v5, v6, s2, v5
	v_cmp_ne_u32_e32 vcc, 0, v4
	s_brev_b32 s2, 1
	s_nop 0
	v_cndmask_b32_e32 v4, 0, v5, vcc
	v_and_or_b32 v1, v1, s2, v4
.LBB22_215:
	s_mov_b64 s[2:3], 0
.LBB22_216:
	s_andn2_b64 vcc, exec, s[2:3]
	s_cbranch_vccnz .LBB22_218
; %bb.217:
	global_load_ubyte v1, v[2:3], off
	s_movk_i32 s2, 0x7f00
	s_brev_b32 s3, 16
	s_waitcnt vmcnt(0)
	v_lshlrev_b16_e32 v4, 8, v1
	v_lshlrev_b32_e32 v1, 25, v1
	v_lshrrev_b32_e32 v5, 4, v1
	v_and_or_b32 v6, v4, s2, 0.5
	v_or_b32_e32 v5, 0x70000000, v5
	v_add_f32_e32 v6, -0.5, v6
	v_mul_f32_e32 v5, 0x7800000, v5
	v_cmp_gt_u32_e32 vcc, s3, v1
	v_bfe_i32 v4, v4, 0, 16
	s_brev_b32 s2, 1
	v_cndmask_b32_e32 v1, v5, v6, vcc
	v_and_or_b32 v1, v4, s2, v1
.LBB22_218:
	s_mov_b64 s[4:5], 0
	s_mov_b64 s[2:3], -1
.LBB22_219:
	s_andn2_b64 vcc, exec, s[4:5]
	s_cbranch_vccnz .LBB22_232
; %bb.220:
	s_cmp_gt_i32 s10, 14
	s_cbranch_scc0 .LBB22_223
; %bb.221:
	s_cmp_eq_u32 s10, 15
	s_cbranch_scc0 .LBB22_226
; %bb.222:
	global_load_ushort v1, v[2:3], off
	s_mov_b64 s[2:3], -1
	s_mov_b64 s[8:9], 0
	s_waitcnt vmcnt(0)
	v_lshlrev_b32_e32 v1, 16, v1
	s_branch .LBB22_227
.LBB22_223:
	s_mov_b64 s[4:5], -1
                                        ; implicit-def: $vgpr1
	s_branch .LBB22_228
.LBB22_224:
	s_or_saveexec_b64 s[4:5], s[4:5]
	v_mov_b32_e32 v1, 0x7f800001
	s_xor_b64 exec, exec, s[4:5]
	s_cbranch_execz .LBB22_205
.LBB22_225:
	v_cmp_ne_u16_e32 vcc, 0, v4
	s_andn2_b64 s[2:3], s[2:3], exec
	s_and_b64 s[6:7], vcc, exec
	v_mov_b32_e32 v1, 0
	s_or_b64 s[2:3], s[2:3], s[6:7]
	s_or_b64 exec, exec, s[4:5]
	s_and_saveexec_b64 s[4:5], s[2:3]
	s_cbranch_execnz .LBB22_206
	s_branch .LBB22_207
.LBB22_226:
	s_mov_b64 s[8:9], -1
                                        ; implicit-def: $vgpr1
.LBB22_227:
	s_mov_b64 s[4:5], 0
.LBB22_228:
	s_and_b64 vcc, exec, s[4:5]
	s_cbranch_vccz .LBB22_232
; %bb.229:
	s_cmp_eq_u32 s10, 11
	s_cbranch_scc0 .LBB22_231
; %bb.230:
	global_load_ubyte v1, v[2:3], off
	s_mov_b64 s[2:3], -1
	s_mov_b64 s[8:9], 0
	s_waitcnt vmcnt(0)
	v_cmp_ne_u16_e32 vcc, 0, v1
	s_nop 1
	v_cndmask_b32_e64 v1, 0, 1.0, vcc
	s_branch .LBB22_232
.LBB22_231:
	s_mov_b64 s[8:9], -1
                                        ; implicit-def: $vgpr1
.LBB22_232:
	s_branch .LBB22_25
.LBB22_233:
	s_cmp_lt_i32 s10, 5
	s_cbranch_scc1 .LBB22_238
; %bb.234:
	s_cmp_lt_i32 s10, 8
	s_cbranch_scc1 .LBB22_239
; %bb.235:
	;; [unrolled: 3-line block ×3, first 2 shown]
	s_cmp_gt_i32 s10, 9
	s_cbranch_scc0 .LBB22_241
; %bb.237:
	global_load_dwordx2 v[4:5], v[2:3], off
	s_mov_b64 s[2:3], 0
	s_waitcnt vmcnt(0)
	v_cvt_f32_f64_e32 v1, v[4:5]
	s_branch .LBB22_242
.LBB22_238:
                                        ; implicit-def: $vgpr1
	s_branch .LBB22_260
.LBB22_239:
	s_mov_b64 s[2:3], -1
                                        ; implicit-def: $vgpr1
	s_branch .LBB22_248
.LBB22_240:
	s_mov_b64 s[2:3], -1
                                        ; implicit-def: $vgpr1
	s_branch .LBB22_245
.LBB22_241:
	s_mov_b64 s[2:3], -1
                                        ; implicit-def: $vgpr1
.LBB22_242:
	s_andn2_b64 vcc, exec, s[2:3]
	s_cbranch_vccnz .LBB22_244
; %bb.243:
	global_load_dword v1, v[2:3], off
.LBB22_244:
	s_mov_b64 s[2:3], 0
.LBB22_245:
	s_andn2_b64 vcc, exec, s[2:3]
	s_cbranch_vccnz .LBB22_247
; %bb.246:
	global_load_dword v1, v[2:3], off
	s_waitcnt vmcnt(0)
	v_cvt_f32_f16_e32 v1, v1
.LBB22_247:
	s_mov_b64 s[2:3], 0
.LBB22_248:
	s_andn2_b64 vcc, exec, s[2:3]
	s_cbranch_vccnz .LBB22_259
; %bb.249:
	s_cmp_lt_i32 s10, 6
	s_cbranch_scc1 .LBB22_252
; %bb.250:
	s_cmp_gt_i32 s10, 6
	s_cbranch_scc0 .LBB22_253
; %bb.251:
	global_load_dwordx2 v[4:5], v[2:3], off
	s_mov_b64 s[2:3], 0
	s_waitcnt vmcnt(0)
	v_cvt_f32_f64_e32 v1, v[4:5]
	s_branch .LBB22_254
.LBB22_252:
	s_mov_b64 s[2:3], -1
                                        ; implicit-def: $vgpr1
	s_branch .LBB22_257
.LBB22_253:
	s_mov_b64 s[2:3], -1
                                        ; implicit-def: $vgpr1
.LBB22_254:
	s_andn2_b64 vcc, exec, s[2:3]
	s_cbranch_vccnz .LBB22_256
; %bb.255:
	global_load_dword v1, v[2:3], off
.LBB22_256:
	s_mov_b64 s[2:3], 0
.LBB22_257:
	s_andn2_b64 vcc, exec, s[2:3]
	s_cbranch_vccnz .LBB22_259
; %bb.258:
	global_load_ushort v1, v[2:3], off
	s_waitcnt vmcnt(0)
	v_cvt_f32_f16_e32 v1, v1
.LBB22_259:
	s_cbranch_execnz .LBB22_279
.LBB22_260:
	s_cmp_lt_i32 s10, 2
	s_cbranch_scc1 .LBB22_264
; %bb.261:
	s_cmp_lt_i32 s10, 3
	s_cbranch_scc1 .LBB22_265
; %bb.262:
	s_cmp_gt_i32 s10, 3
	s_cbranch_scc0 .LBB22_266
; %bb.263:
	global_load_dwordx2 v[4:5], v[2:3], off
	s_mov_b64 s[2:3], 0
	s_waitcnt vmcnt(0)
	v_xor_b32_e32 v6, v4, v5
	v_ffbh_i32_e32 v1, v5
	v_ashrrev_i32_e32 v6, 31, v6
	v_add_u32_e32 v1, -1, v1
	v_add_u32_e32 v6, 32, v6
	v_min_u32_e32 v1, v1, v6
	v_lshlrev_b64 v[4:5], v1, v[4:5]
	v_min_u32_e32 v4, 1, v4
	v_or_b32_e32 v4, v5, v4
	v_cvt_f32_i32_e32 v4, v4
	v_sub_u32_e32 v1, 32, v1
	v_ldexp_f32 v1, v4, v1
	s_branch .LBB22_267
.LBB22_264:
	s_mov_b64 s[2:3], -1
                                        ; implicit-def: $vgpr1
	s_branch .LBB22_273
.LBB22_265:
	s_mov_b64 s[2:3], -1
                                        ; implicit-def: $vgpr1
	s_branch .LBB22_270
.LBB22_266:
	s_mov_b64 s[2:3], -1
                                        ; implicit-def: $vgpr1
.LBB22_267:
	s_andn2_b64 vcc, exec, s[2:3]
	s_cbranch_vccnz .LBB22_269
; %bb.268:
	global_load_dword v1, v[2:3], off
	s_waitcnt vmcnt(0)
	v_cvt_f32_i32_e32 v1, v1
.LBB22_269:
	s_mov_b64 s[2:3], 0
.LBB22_270:
	s_andn2_b64 vcc, exec, s[2:3]
	s_cbranch_vccnz .LBB22_272
; %bb.271:
	global_load_sshort v1, v[2:3], off
	s_waitcnt vmcnt(0)
	v_cvt_f32_i32_e32 v1, v1
.LBB22_272:
	s_mov_b64 s[2:3], 0
.LBB22_273:
	s_andn2_b64 vcc, exec, s[2:3]
	s_cbranch_vccnz .LBB22_279
; %bb.274:
	s_cmp_gt_i32 s10, 0
	s_cbranch_scc0 .LBB22_276
; %bb.275:
	global_load_sbyte v1, v[2:3], off
	s_mov_b64 s[2:3], 0
	s_waitcnt vmcnt(0)
	v_cvt_f32_i32_e32 v1, v1
	s_branch .LBB22_277
.LBB22_276:
	s_mov_b64 s[2:3], -1
                                        ; implicit-def: $vgpr1
.LBB22_277:
	s_andn2_b64 vcc, exec, s[2:3]
	s_cbranch_vccnz .LBB22_279
; %bb.278:
	global_load_ubyte v1, v[2:3], off
	s_waitcnt vmcnt(0)
	v_cvt_f32_ubyte0_e32 v1, v1
.LBB22_279:
	s_branch .LBB22_26
.LBB22_280:
	s_mov_b64 s[2:3], 0
.LBB22_281:
	s_mov_b64 s[4:5], 0
                                        ; implicit-def: $vgpr13
.LBB22_282:
	s_and_b64 s[54:55], s[2:3], exec
	s_and_b64 s[56:57], s[8:9], exec
	s_orn2_b64 s[4:5], s[4:5], exec
.LBB22_283:
	s_or_b64 exec, exec, s[58:59]
	s_mov_b64 s[6:7], 0
	s_mov_b64 s[2:3], 0
                                        ; implicit-def: $vgpr2_vgpr3
                                        ; implicit-def: $vgpr0
                                        ; implicit-def: $vgpr1
	s_and_saveexec_b64 s[58:59], s[4:5]
	s_cbranch_execz .LBB22_291
; %bb.284:
	v_cmp_gt_i32_e32 vcc, s70, v13
	s_mov_b64 s[2:3], -1
	s_mov_b64 s[60:61], s[56:57]
	s_mov_b64 s[62:63], s[54:55]
	s_and_saveexec_b64 s[64:65], vcc
	s_cbranch_execz .LBB22_576
; %bb.285:
	s_andn2_b64 vcc, exec, s[42:43]
	s_cbranch_vccnz .LBB22_294
; %bb.286:
	s_andn2_b64 vcc, exec, s[52:53]
	s_cbranch_vccnz .LBB22_295
; %bb.287:
	s_add_i32 s63, s75, 1
	s_cmp_eq_u32 s72, 2
	s_cbranch_scc1 .LBB22_296
; %bb.288:
	s_and_b32 s62, s63, 28
	s_mov_b32 s66, 0
	v_mov_b32_e32 v0, 0
	v_mov_b32_e32 v2, 0
	s_mov_b64 s[2:3], s[34:35]
	s_mov_b64 s[60:61], s[50:51]
	v_mov_b32_e32 v4, v13
.LBB22_289:                             ; =>This Inner Loop Header: Depth=1
	s_load_dwordx8 s[12:19], s[2:3], 0x4
	s_load_dwordx4 s[36:39], s[2:3], 0x24
	s_load_dwordx8 s[4:11], s[60:61], 0x0
	s_add_u32 s2, s2, 48
	s_addc_u32 s3, s3, 0
	s_waitcnt vmcnt(0) lgkmcnt(0)
	v_mul_hi_u32 v1, s13, v4
	v_add_u32_e32 v1, v4, v1
	v_lshrrev_b32_e32 v1, s14, v1
	v_mul_lo_u32 v3, v1, s12
	v_mul_hi_u32 v5, s16, v1
	v_sub_u32_e32 v3, v4, v3
	v_add_u32_e32 v4, v1, v5
	v_lshrrev_b32_e32 v4, s17, v4
	v_mul_lo_u32 v6, v4, s15
	v_mul_hi_u32 v7, s19, v4
	v_sub_u32_e32 v1, v1, v6
	v_add_u32_e32 v6, v4, v7
	v_mul_lo_u32 v5, v3, s5
	v_mul_lo_u32 v3, v3, s4
	;; [unrolled: 1-line block ×4, first 2 shown]
	v_lshrrev_b32_e32 v6, s36, v6
	v_add3_u32 v0, v3, v0, v1
	v_mul_hi_u32 v3, s38, v6
	v_add3_u32 v1, v5, v2, v7
	v_mul_lo_u32 v2, v6, s18
	v_add_u32_e32 v3, v6, v3
	v_sub_u32_e32 v2, v4, v2
	v_lshrrev_b32_e32 v4, s39, v3
	s_add_i32 s66, s66, 4
	v_mul_lo_u32 v3, v4, s37
	s_add_u32 s60, s60, 32
	v_sub_u32_e32 v3, v6, v3
	s_addc_u32 s61, s61, 0
	v_mul_lo_u32 v5, v2, s8
	v_mul_lo_u32 v2, v2, s9
	;; [unrolled: 1-line block ×4, first 2 shown]
	s_cmp_eq_u32 s62, s66
	v_add3_u32 v2, v2, v1, v3
	v_add3_u32 v0, v5, v0, v6
	s_cbranch_scc0 .LBB22_289
; %bb.290:
	v_mov_b32_e32 v1, v2
	s_branch .LBB22_297
.LBB22_291:
	s_or_b64 exec, exec, s[58:59]
	s_mov_b64 s[8:9], 0
	s_and_saveexec_b64 s[4:5], s[56:57]
	s_cbranch_execnz .LBB22_970
.LBB22_292:
	s_or_b64 exec, exec, s[4:5]
	s_and_saveexec_b64 s[4:5], s[62:63]
	s_xor_b64 s[4:5], exec, s[4:5]
	s_cbranch_execz .LBB22_971
.LBB22_293:
	global_load_ubyte v1, v[2:3], off
	s_or_b64 s[2:3], s[2:3], exec
	s_waitcnt vmcnt(0)
	v_cmp_ne_u16_e32 vcc, 0, v1
	s_nop 1
	v_cndmask_b32_e64 v1, 0, 1.0, vcc
	s_or_b64 exec, exec, s[4:5]
	s_and_saveexec_b64 s[4:5], s[6:7]
	s_cbranch_execz .LBB22_1017
	s_branch .LBB22_972
.LBB22_294:
                                        ; implicit-def: $vgpr2
                                        ; implicit-def: $vgpr0
	s_andn2_b64 vcc, exec, s[2:3]
	s_cbranch_vccz .LBB22_301
	s_branch .LBB22_303
.LBB22_295:
	v_mov_b32_e32 v2, 0
	v_mov_b32_e32 v0, 0
	s_branch .LBB22_300
.LBB22_296:
	v_mov_b32_e32 v0, 0
	s_mov_b32 s62, 0
	s_waitcnt vmcnt(0)
	v_mov_b32_e32 v1, v0
                                        ; implicit-def: $vgpr2
	v_mov_b32_e32 v4, v13
.LBB22_297:
	s_and_b32 s6, s63, 3
	s_cmp_eq_u32 s6, 0
	s_cbranch_scc1 .LBB22_300
; %bb.298:
	s_lshl_b32 s2, s62, 3
	s_add_u32 s2, s34, s2
	s_addc_u32 s3, s35, 0
	s_add_u32 s2, s2, 0xc4
	s_addc_u32 s3, s3, 0
	s_mul_i32 s4, s62, 12
	s_add_u32 s4, s34, s4
	s_addc_u32 s5, s35, 0
.LBB22_299:                             ; =>This Inner Loop Header: Depth=1
	s_load_dwordx2 s[8:9], s[4:5], 0x4
	s_load_dword s7, s[4:5], 0xc
	s_load_dwordx2 s[10:11], s[2:3], 0x0
	v_mov_b32_e32 v2, v1
	s_add_u32 s4, s4, 12
	s_waitcnt lgkmcnt(0)
	v_mul_hi_u32 v1, s9, v4
	v_add_u32_e32 v1, v4, v1
	v_lshrrev_b32_e32 v1, s7, v1
	s_addc_u32 s5, s5, 0
	v_mul_lo_u32 v3, v1, s8
	s_add_u32 s2, s2, 8
	v_sub_u32_e32 v5, v4, v3
	s_addc_u32 s3, s3, 0
	s_add_i32 s6, s6, -1
	v_mov_b32_e32 v4, v1
	v_mad_u64_u32 v[2:3], s[8:9], v5, s11, v[2:3]
	v_mad_u64_u32 v[0:1], s[8:9], v5, s10, v[0:1]
	s_cmp_lg_u32 s6, 0
	v_mov_b32_e32 v1, v2
	s_cbranch_scc1 .LBB22_299
.LBB22_300:
	s_cbranch_execnz .LBB22_303
.LBB22_301:
	s_waitcnt lgkmcnt(0)
	v_mul_hi_u32 v0, s29, v13
	v_add_u32_e32 v0, v13, v0
	s_waitcnt vmcnt(0)
	v_lshrrev_b32_e32 v1, s30, v0
	v_mul_lo_u32 v0, v1, s28
	v_sub_u32_e32 v0, v13, v0
	v_mul_lo_u32 v2, v0, s25
	s_andn2_b64 vcc, exec, s[48:49]
	v_mul_lo_u32 v0, v0, s24
	s_cbranch_vccnz .LBB22_303
; %bb.302:
	v_mul_hi_u32 v3, s46, v1
	v_add_u32_e32 v3, v1, v3
	v_lshrrev_b32_e32 v3, s47, v3
	v_mul_lo_u32 v3, v3, s31
	v_sub_u32_e32 v3, v1, v3
	v_mad_u64_u32 v[0:1], s[2:3], v3, s26, v[0:1]
	v_mad_u64_u32 v[2:3], s[2:3], v3, s27, v[2:3]
.LBB22_303:
	v_mov_b32_e32 v3, 0
	s_and_b32 s10, 0xffff, s74
	s_cmp_lt_i32 s10, 11
	s_waitcnt lgkmcnt(0)
	v_lshl_add_u64 v[2:3], s[22:23], 0, v[2:3]
	s_cbranch_scc1 .LBB22_310
; %bb.304:
	s_cmp_gt_i32 s10, 25
	s_cbranch_scc0 .LBB22_321
; %bb.305:
	s_cmp_gt_i32 s10, 28
	s_cbranch_scc0 .LBB22_337
	;; [unrolled: 3-line block ×4, first 2 shown]
; %bb.308:
	s_cmp_eq_u32 s10, 46
	s_mov_b64 s[4:5], 0
	s_cbranch_scc0 .LBB22_347
; %bb.309:
	global_load_dword v1, v[2:3], off
	s_mov_b64 s[2:3], -1
	s_mov_b64 s[8:9], 0
	s_waitcnt vmcnt(0)
	v_lshlrev_b32_e32 v1, 16, v1
	s_branch .LBB22_348
.LBB22_310:
	s_mov_b64 s[2:3], 0
                                        ; implicit-def: $vgpr1
	s_mov_b64 s[8:9], s[56:57]
	s_cbranch_execnz .LBB22_525
.LBB22_311:
	s_andn2_b64 vcc, exec, s[2:3]
	s_cbranch_vccnz .LBB22_573
.LBB22_312:
	s_mov_b32 s2, 0x40a00000
	s_waitcnt vmcnt(0)
	v_cmp_ge_f32_e32 vcc, s2, v1
                                        ; implicit-def: $vgpr2
	s_and_saveexec_b64 s[2:3], vcc
	s_xor_b64 s[4:5], exec, s[2:3]
	s_cbranch_execz .LBB22_318
; %bb.313:
	v_cmp_neq_f32_e32 vcc, 0, v1
	v_mov_b32_e32 v2, 0xff800000
	s_and_saveexec_b64 s[6:7], vcc
	s_cbranch_execz .LBB22_317
; %bb.314:
	v_cmp_nge_f32_e32 vcc, 0, v1
	v_mov_b32_e32 v2, 0x7fc00000
	s_and_saveexec_b64 s[10:11], vcc
	s_cbranch_execz .LBB22_316
; %bb.315:
	v_mul_f32_e32 v2, v1, v1
	v_mov_b32_e32 v3, 0x4414934d
	v_fmac_f32_e32 v3, 0, v2
	v_fmaak_f32 v3, v2, v3, 0x48660b06
	s_mov_b32 s2, 0x4e9695f3
	v_mul_f32_e32 v4, 0, v2
	v_mul_f32_e32 v5, v2, v3
	s_mov_b32 s3, 0x4c8c277d
	v_pk_add_f32 v[6:7], v[4:5], s[2:3]
	s_mov_b32 s2, 0xd316b96b
	s_mov_b32 s3, 0x508bc61d
	v_pk_fma_f32 v[6:7], v[2:3], v[6:7], s[2:3] op_sel_hi:[0,1,1]
	s_mov_b32 s2, 0x56d04aa6
	s_mov_b32 s3, 0x5461faf8
	v_pk_fma_f32 v[6:7], v[2:3], v[6:7], s[2:3] op_sel_hi:[0,1,1]
	;; [unrolled: 3-line block ×5, first 2 shown]
	v_div_scale_f32 v3, s[2:3], v7, v7, v6
	v_rcp_f32_e32 v8, v3
	s_mov_b32 s2, 0xce5691e2
	s_mov_b32 s3, 0x548a37dc
	v_fma_f32 v5, -v3, v8, 1.0
	v_fmac_f32_e32 v8, v5, v8
	v_div_scale_f32 v5, vcc, v6, v7, v6
	v_mul_f32_e32 v9, v5, v8
	v_fma_f32 v10, -v3, v9, v5
	v_fmac_f32_e32 v9, v10, v8
	v_fma_f32 v3, -v3, v9, v5
	v_mov_b32_e32 v5, 0x441b3589
	v_fmac_f32_e32 v5, 0, v2
	v_fmaak_f32 v5, v2, v5, 0x487af6d0
	v_fmaak_f32 v5, v2, v5, 0x4c9f4aa7
	v_fmaak_f32 v5, v2, v5, 0x50a509fc
	v_mul_f32_e32 v5, v2, v5
	v_pk_add_f32 v[4:5], v[4:5], s[2:3]
	s_mov_b32 s2, 0x52d295d0
	s_mov_b32 s3, 0x58325852
	v_pk_fma_f32 v[4:5], v[2:3], v[4:5], s[2:3] op_sel_hi:[0,1,1]
	s_mov_b32 s2, 0xd6845497
	s_mov_b32 s3, 0x5b9f0600
	v_pk_fma_f32 v[4:5], v[2:3], v[4:5], s[2:3] op_sel_hi:[0,1,1]
	;; [unrolled: 3-line block ×3, first 2 shown]
	v_div_scale_f32 v10, s[2:3], v5, v5, v4
	v_rcp_f32_e32 v11, v10
	v_div_fmas_f32 v3, v3, v8, v9
	v_div_fixup_f32 v6, v3, v7, v6
	s_mov_b32 s2, 0xc244dfb3
	v_fma_f32 v3, -v10, v11, 1.0
	v_fmac_f32_e32 v11, v3, v11
	v_div_scale_f32 v3, vcc, v4, v5, v4
	v_mul_f32_e32 v7, v3, v11
	v_fma_f32 v8, -v10, v7, v3
	v_fmac_f32_e32 v7, v8, v11
	v_fma_f32 v3, -v10, v7, v3
	v_div_fmas_f32 v3, v3, v11, v7
	v_div_fixup_f32 v3, v3, v5, v4
	s_mov_b32 s3, 0xc16ae95a
	v_mul_f32_e32 v4, v1, v3
	v_pk_add_f32 v[2:3], v[2:3], s[2:3] op_sel_hi:[0,1]
	s_mov_b32 s2, 0x800000
	v_cmp_gt_f32_e32 vcc, s2, v1
	v_mul_f32_e32 v3, v3, v4
	v_mul_f32_e32 v2, v2, v3
	v_cndmask_b32_e64 v5, 0, 32, vcc
	v_ldexp_f32 v5, v1, v5
	v_log_f32_e32 v5, v5
	s_mov_b32 s2, 0x3f317217
	v_mov_b32_e32 v7, 0x41b17218
	v_cndmask_b32_e32 v7, 0, v7, vcc
	v_mul_f32_e32 v3, 0x3f317217, v5
	v_fma_f32 v3, v5, s2, -v3
	v_fmamk_f32 v3, v5, 0x3377d1cf, v3
	s_mov_b32 s2, 0x7f800000
	v_fmac_f32_e32 v3, 0x3f317217, v5
	v_cmp_lt_f32_e64 s[2:3], |v5|, s2
	s_nop 1
	v_cndmask_b32_e64 v3, v5, v3, s[2:3]
	v_div_scale_f32 v4, s[2:3], v1, v1, -1.0
	v_rcp_f32_e32 v5, v4
	v_sub_f32_e32 v3, v3, v7
	v_fma_f32 v7, -v4, v5, 1.0
	v_fmac_f32_e32 v5, v7, v5
	v_div_scale_f32 v7, vcc, -1.0, v1, -1.0
	v_mul_f32_e32 v8, v7, v5
	v_fma_f32 v9, -v4, v8, v7
	v_fmac_f32_e32 v8, v9, v5
	v_fma_f32 v4, -v4, v8, v7
	v_div_fmas_f32 v4, v4, v5, v8
	v_div_fixup_f32 v4, v4, v1, -1.0
	v_fmac_f32_e32 v4, v3, v2
	v_mul_f32_e32 v2, 0x3f22f983, v4
	v_fmac_f32_e32 v2, v1, v6
.LBB22_316:
	s_or_b64 exec, exec, s[10:11]
.LBB22_317:
	s_or_b64 exec, exec, s[6:7]
                                        ; implicit-def: $vgpr1
.LBB22_318:
	s_andn2_saveexec_b64 s[10:11], s[4:5]
	s_cbranch_execz .LBB22_329
; %bb.319:
	v_add_f32_e32 v2, 0xc016cbe4, v1
	s_brev_b32 s2, 18
	v_and_b32_e32 v3, 0x7fffffff, v2
	v_cmp_nlt_f32_e64 s[12:13], |v2|, s2
                                        ; implicit-def: $vgpr4
                                        ; implicit-def: $vgpr5
	s_and_saveexec_b64 s[2:3], s[12:13]
	s_xor_b64 s[14:15], exec, s[2:3]
	s_cbranch_execz .LBB22_322
; %bb.320:
	v_lshrrev_b32_e32 v4, 23, v3
	v_add_u32_e32 v4, 0xffffff88, v4
	v_not_b32_e32 v5, 63
	v_cmp_lt_u32_e32 vcc, 63, v4
	s_mov_b32 s6, 0xfe5163ab
	v_mov_b32_e32 v7, 0
	v_cndmask_b32_e32 v5, 0, v5, vcc
	v_add_u32_e32 v4, v5, v4
	v_not_b32_e32 v5, 31
	v_cmp_lt_u32_e64 s[2:3], 31, v4
	s_nop 1
	v_cndmask_b32_e64 v6, 0, v5, s[2:3]
	v_add_u32_e32 v4, v6, v4
	v_cmp_lt_u32_e64 s[4:5], 31, v4
	s_nop 1
	v_cndmask_b32_e64 v5, 0, v5, s[4:5]
	v_add_u32_e32 v12, v5, v4
	v_and_b32_e32 v4, 0x7fffff, v3
	v_or_b32_e32 v20, 0x800000, v4
	v_mad_u64_u32 v[4:5], s[6:7], v20, s6, 0
	v_mov_b32_e32 v6, v5
	s_mov_b32 s6, 0x3c439041
	v_mad_u64_u32 v[8:9], s[6:7], v20, s6, v[6:7]
	v_mov_b32_e32 v6, v9
	s_mov_b32 s6, 0xdb629599
	;; [unrolled: 3-line block ×6, first 2 shown]
	v_mad_u64_u32 v[6:7], s[6:7], v20, s6, v[6:7]
	v_cndmask_b32_e32 v5, v18, v14, vcc
	v_cndmask_b32_e32 v6, v6, v16, vcc
	;; [unrolled: 1-line block ×3, first 2 shown]
	v_cndmask_b32_e64 v9, v6, v5, s[2:3]
	v_cndmask_b32_e64 v6, v7, v6, s[2:3]
	v_cndmask_b32_e32 v7, v16, v10, vcc
	v_cndmask_b32_e64 v5, v5, v7, s[2:3]
	v_cndmask_b32_e32 v8, v14, v8, vcc
	v_cndmask_b32_e64 v6, v6, v9, s[4:5]
	v_cndmask_b32_e64 v9, v9, v5, s[4:5]
	v_sub_u32_e32 v11, 32, v12
	v_cndmask_b32_e64 v7, v7, v8, s[2:3]
	v_alignbit_b32 v15, v6, v9, v11
	v_cmp_eq_u32_e64 s[6:7], 0, v12
	v_cndmask_b32_e64 v5, v5, v7, s[4:5]
	v_alignbit_b32 v12, v9, v5, v11
	v_cndmask_b32_e64 v6, v15, v6, s[6:7]
	v_cndmask_b32_e32 v4, v10, v4, vcc
	v_cndmask_b32_e64 v9, v12, v9, s[6:7]
	v_bfe_u32 v15, v6, 29, 1
	v_cndmask_b32_e64 v4, v8, v4, s[2:3]
	v_alignbit_b32 v12, v6, v9, 30
	v_sub_u32_e32 v16, 0, v15
	v_cndmask_b32_e64 v4, v7, v4, s[4:5]
	v_xor_b32_e32 v12, v12, v16
	v_alignbit_b32 v7, v5, v4, v11
	v_cndmask_b32_e64 v5, v7, v5, s[6:7]
	v_ffbh_u32_e32 v8, v12
	v_alignbit_b32 v7, v9, v5, 30
	v_min_u32_e32 v8, 32, v8
	v_alignbit_b32 v4, v5, v4, 30
	v_xor_b32_e32 v7, v7, v16
	v_sub_u32_e32 v9, 31, v8
	v_xor_b32_e32 v4, v4, v16
	v_alignbit_b32 v10, v12, v7, v9
	v_alignbit_b32 v4, v7, v4, v9
	;; [unrolled: 1-line block ×3, first 2 shown]
	v_ffbh_u32_e32 v7, v5
	v_min_u32_e32 v7, 32, v7
	v_lshrrev_b32_e32 v14, 29, v6
	v_not_b32_e32 v9, v7
	v_alignbit_b32 v4, v5, v4, v9
	v_lshlrev_b32_e32 v5, 31, v14
	v_or_b32_e32 v9, 0x33000000, v5
	v_add_lshl_u32 v7, v7, v8, 23
	v_lshrrev_b32_e32 v4, 9, v4
	v_sub_u32_e32 v7, v9, v7
	v_or_b32_e32 v5, 0.5, v5
	v_lshlrev_b32_e32 v8, 23, v8
	v_or_b32_e32 v4, v7, v4
	v_lshrrev_b32_e32 v7, 9, v10
	v_sub_u32_e32 v5, v5, v8
	v_or_b32_e32 v5, v7, v5
	s_mov_b32 s2, 0x3fc90fda
	v_mul_f32_e32 v7, 0x3fc90fda, v5
	v_fma_f32 v8, v5, s2, -v7
	v_fmamk_f32 v5, v5, 0x33a22168, v8
	v_fmac_f32_e32 v5, 0x3fc90fda, v4
	v_lshrrev_b32_e32 v4, 30, v6
	v_add_f32_e32 v5, v7, v5
	v_add_u32_e32 v4, v15, v4
	s_andn2_saveexec_b64 s[2:3], s[14:15]
	s_cbranch_execz .LBB22_324
	s_branch .LBB22_323
.LBB22_321:
	s_mov_b64 s[4:5], -1
	s_mov_b64 s[2:3], 0
	s_mov_b64 s[8:9], s[56:57]
                                        ; implicit-def: $vgpr1
	s_branch .LBB22_489
.LBB22_322:
	s_andn2_saveexec_b64 s[2:3], s[14:15]
	s_cbranch_execz .LBB22_324
.LBB22_323:
	s_mov_b32 s4, 0x3f22f983
	v_mul_f32_e64 v4, |v2|, s4
	v_rndne_f32_e32 v5, v4
	s_mov_b32 s4, 0xbfc90fda
	v_cvt_i32_f32_e32 v4, v5
	v_fma_f32 v6, v5, s4, |v2|
	v_fmamk_f32 v6, v5, 0xb3a22168, v6
	v_fmamk_f32 v5, v5, 0xa7c234c4, v6
.LBB22_324:
	s_or_b64 exec, exec, s[2:3]
                                        ; implicit-def: $vgpr6
                                        ; implicit-def: $vgpr7
	s_and_saveexec_b64 s[2:3], s[12:13]
	s_xor_b64 s[12:13], exec, s[2:3]
	s_cbranch_execz .LBB22_326
; %bb.325:
	v_lshrrev_b32_e32 v6, 23, v3
	v_add_u32_e32 v6, 0xffffff88, v6
	v_not_b32_e32 v7, 63
	v_cmp_lt_u32_e32 vcc, 63, v6
	s_mov_b32 s6, 0xfe5163ab
	v_mov_b32_e32 v9, 0
	v_cndmask_b32_e32 v7, 0, v7, vcc
	v_add_u32_e32 v6, v7, v6
	v_not_b32_e32 v7, 31
	v_cmp_lt_u32_e64 s[2:3], 31, v6
	s_nop 1
	v_cndmask_b32_e64 v8, 0, v7, s[2:3]
	v_add_u32_e32 v6, v8, v6
	v_cmp_lt_u32_e64 s[4:5], 31, v6
	s_nop 1
	v_cndmask_b32_e64 v7, 0, v7, s[4:5]
	v_add_u32_e32 v12, v7, v6
	v_and_b32_e32 v6, 0x7fffff, v3
	v_or_b32_e32 v22, 0x800000, v6
	v_mad_u64_u32 v[6:7], s[6:7], v22, s6, 0
	v_mov_b32_e32 v8, v7
	s_mov_b32 s6, 0x3c439041
	v_mad_u64_u32 v[10:11], s[6:7], v22, s6, v[8:9]
	v_mov_b32_e32 v8, v11
	s_mov_b32 s6, 0xdb629599
	;; [unrolled: 3-line block ×6, first 2 shown]
	v_mad_u64_u32 v[8:9], s[6:7], v22, s6, v[8:9]
	v_cndmask_b32_e32 v7, v20, v16, vcc
	v_cndmask_b32_e32 v8, v8, v18, vcc
	v_cndmask_b32_e32 v9, v9, v20, vcc
	v_cndmask_b32_e64 v11, v8, v7, s[2:3]
	v_cndmask_b32_e64 v8, v9, v8, s[2:3]
	v_cndmask_b32_e32 v9, v18, v14, vcc
	v_cndmask_b32_e64 v7, v7, v9, s[2:3]
	v_cndmask_b32_e32 v10, v16, v10, vcc
	v_cndmask_b32_e64 v8, v8, v11, s[4:5]
	v_cndmask_b32_e64 v11, v11, v7, s[4:5]
	v_sub_u32_e32 v15, 32, v12
	v_cndmask_b32_e64 v9, v9, v10, s[2:3]
	v_alignbit_b32 v17, v8, v11, v15
	v_cmp_eq_u32_e64 s[6:7], 0, v12
	v_cndmask_b32_e64 v7, v7, v9, s[4:5]
	v_alignbit_b32 v12, v11, v7, v15
	v_cndmask_b32_e64 v8, v17, v8, s[6:7]
	v_cndmask_b32_e32 v6, v14, v6, vcc
	v_cndmask_b32_e64 v11, v12, v11, s[6:7]
	v_bfe_u32 v17, v8, 29, 1
	v_cndmask_b32_e64 v6, v10, v6, s[2:3]
	v_alignbit_b32 v12, v8, v11, 30
	v_sub_u32_e32 v18, 0, v17
	v_cndmask_b32_e64 v6, v9, v6, s[4:5]
	v_xor_b32_e32 v12, v12, v18
	v_alignbit_b32 v9, v7, v6, v15
	v_cndmask_b32_e64 v7, v9, v7, s[6:7]
	v_ffbh_u32_e32 v10, v12
	v_alignbit_b32 v9, v11, v7, 30
	v_min_u32_e32 v10, 32, v10
	v_alignbit_b32 v6, v7, v6, 30
	v_xor_b32_e32 v9, v9, v18
	v_sub_u32_e32 v11, 31, v10
	v_xor_b32_e32 v6, v6, v18
	v_alignbit_b32 v12, v12, v9, v11
	v_alignbit_b32 v6, v9, v6, v11
	;; [unrolled: 1-line block ×3, first 2 shown]
	v_ffbh_u32_e32 v9, v7
	v_min_u32_e32 v9, 32, v9
	v_lshrrev_b32_e32 v16, 29, v8
	v_not_b32_e32 v11, v9
	v_alignbit_b32 v6, v7, v6, v11
	v_lshlrev_b32_e32 v7, 31, v16
	v_or_b32_e32 v11, 0x33000000, v7
	v_add_lshl_u32 v9, v9, v10, 23
	v_lshrrev_b32_e32 v6, 9, v6
	v_sub_u32_e32 v9, v11, v9
	v_or_b32_e32 v7, 0.5, v7
	v_lshlrev_b32_e32 v10, 23, v10
	v_or_b32_e32 v6, v9, v6
	v_lshrrev_b32_e32 v9, 9, v12
	v_sub_u32_e32 v7, v7, v10
	v_or_b32_e32 v7, v9, v7
	s_mov_b32 s2, 0x3fc90fda
	v_mul_f32_e32 v9, 0x3fc90fda, v7
	v_fma_f32 v10, v7, s2, -v9
	v_fmamk_f32 v7, v7, 0x33a22168, v10
	v_fmac_f32_e32 v7, 0x3fc90fda, v6
	v_lshrrev_b32_e32 v6, 30, v8
	v_add_f32_e32 v7, v9, v7
	v_add_u32_e32 v6, v17, v6
	s_andn2_saveexec_b64 s[2:3], s[12:13]
	s_cbranch_execnz .LBB22_327
	s_branch .LBB22_328
.LBB22_326:
	s_andn2_saveexec_b64 s[2:3], s[12:13]
	s_cbranch_execz .LBB22_328
.LBB22_327:
	s_mov_b32 s4, 0x3f22f983
	v_mul_f32_e64 v6, |v2|, s4
	v_rndne_f32_e32 v7, v6
	s_mov_b32 s4, 0xbfc90fda
	v_cvt_i32_f32_e32 v6, v7
	v_fma_f32 v8, v7, s4, |v2|
	v_fmamk_f32 v8, v7, 0xb3a22168, v8
	v_fmamk_f32 v7, v7, 0xa7c234c4, v8
.LBB22_328:
	s_or_b64 exec, exec, s[2:3]
	s_mov_b32 s4, 0x40a00000
	v_div_scale_f32 v8, s[2:3], v1, v1, s4
	v_rcp_f32_e32 v9, v8
	v_div_scale_f32 v10, vcc, s4, v1, s4
	v_mov_b32_e32 v14, 0x42947983
	v_fma_f32 v11, -v8, v9, 1.0
	v_fmac_f32_e32 v9, v11, v9
	v_mul_f32_e32 v11, v10, v9
	v_fma_f32 v12, -v8, v11, v10
	v_fmac_f32_e32 v11, v12, v9
	v_fma_f32 v8, -v8, v11, v10
	v_div_fmas_f32 v8, v8, v9, v11
	v_div_fixup_f32 v8, v8, v1, s4
	v_mul_f32_e32 v9, v8, v8
	v_mov_b32_e32 v10, 0x3a47c962
	v_mov_b32_e32 v11, 0x3a15c4d9
	v_fmac_f32_e32 v10, 0, v9
	v_fmac_f32_e32 v11, 0, v9
	v_fmaak_f32 v10, v9, v10, 0x3d95ca45
	v_fmaak_f32 v11, v9, v11, 0x3d8cfeeb
	v_fmaak_f32 v10, v9, v10, 0x3f9047f6
	v_fmaak_f32 v11, v9, v11, 0x3f8d754e
	v_fmaak_f32 v10, v9, v10, 0x40a39628
	v_fmaak_f32 v11, v9, v11, 0x40a25d18
	v_fmaak_f32 v10, v9, v10, 0x4106c8e4
	v_fmaak_f32 v11, v9, v11, 0x410665cf
	v_mov_b32_e32 v12, 0x3d513fd3
	v_fmaak_f32 v10, v9, v10, 0x40a6dd51
	v_fmaak_f32 v11, v9, v11, 0x40a6b6ea
	v_fmac_f32_e32 v12, 0, v9
	v_fma_f32 v11, v9, v11, 1.0
	v_fmaak_f32 v12, v9, v12, 0x409f6dae
	v_fmac_f32_e32 v14, 0, v9
	v_fma_f32 v10, v9, v10, 1.0
	v_fmaak_f32 v12, v9, v12, 0x4297a5cd
	v_fmaak_f32 v14, v9, v14, 0x44840e5d
	v_div_scale_f32 v15, s[2:3], v11, v11, v10
	v_fmaak_f32 v12, v9, v12, 0x43b763ca
	v_fmaak_f32 v14, v9, v14, 0x459bd349
	v_rcp_f32_e32 v16, v15
	v_fmaak_f32 v12, v9, v12, 0x4431b6ce
	v_fmaak_f32 v14, v9, v14, 0x46156947
	;; [unrolled: 1-line block ×8, first 2 shown]
	v_fma_f32 v14, -v15, v16, 1.0
	v_fmac_f32_e32 v16, v14, v16
	v_div_scale_f32 v14, vcc, v10, v11, v10
	v_mul_f32_e32 v17, v14, v16
	v_fma_f32 v18, -v15, v17, v14
	v_fmac_f32_e32 v17, v18, v16
	v_fma_f32 v14, -v15, v17, v14
	v_div_fmas_f32 v14, v14, v16, v17
	v_div_fixup_f32 v10, v14, v11, v10
	v_mul_f32_e32 v11, v5, v5
	v_mov_b32_e32 v14, 0x3c0881c4
	v_fmamk_f32 v15, v11, 0xb94c1982, v14
	v_fmaak_f32 v15, v11, v15, 0xbe2aaa9d
	v_mul_f32_e32 v15, v11, v15
	v_fmac_f32_e32 v5, v5, v15
	v_mov_b32_e32 v15, 0xbab64f3b
	v_fmamk_f32 v17, v11, 0x37d75334, v15
	v_fmaak_f32 v17, v11, v17, 0x3d2aabf7
	v_fmaak_f32 v17, v11, v17, 0xbf000004
	v_fma_f32 v11, v11, v17, 1.0
	v_and_b32_e32 v17, 1, v4
	v_lshlrev_b32_e32 v4, 30, v4
	v_cmp_eq_u32_e32 vcc, 0, v17
	v_and_b32_e32 v4, 0x80000000, v4
	v_xor_b32_e32 v3, v3, v2
	v_cndmask_b32_e32 v5, v11, v5, vcc
	v_xor_b32_e32 v3, v3, v4
	v_div_scale_f32 v4, s[2:3], v9, v9, v12
	v_xor_b32_e32 v3, v3, v5
	v_rcp_f32_e32 v5, v4
	s_movk_i32 s5, 0x1f8
	v_mov_b32_e32 v11, 0x7fc00000
	v_cmp_class_f32_e64 s[2:3], v2, s5
	v_mov_b32_e32 v16, 0xbe2aaa9d
	v_mov_b32_e32 v18, 0x3d2aabf7
	v_cndmask_b32_e64 v2, v11, v3, s[2:3]
	v_fma_f32 v3, -v4, v5, 1.0
	v_fmac_f32_e32 v5, v3, v5
	v_div_scale_f32 v3, vcc, v12, v9, v12
	v_mul_f32_e32 v17, v3, v5
	v_fma_f32 v20, -v4, v17, v3
	v_fmac_f32_e32 v17, v20, v5
	v_fma_f32 v3, -v4, v17, v3
	v_mul_f32_e32 v4, v7, v7
	v_fmac_f32_e32 v14, 0xb94c1982, v4
	v_fmac_f32_e32 v16, v4, v14
	v_fmac_f32_e32 v15, 0x37d75334, v4
	v_mov_b32_e32 v19, 0xbf000004
	v_div_fmas_f32 v3, v3, v5, v17
	v_mul_f32_e32 v5, v4, v16
	v_fmac_f32_e32 v18, v4, v15
	v_fmac_f32_e32 v7, v7, v5
	;; [unrolled: 1-line block ×3, first 2 shown]
	v_and_b32_e32 v5, 1, v6
	v_fma_f32 v4, v4, v19, 1.0
	v_cmp_eq_u32_e32 vcc, 0, v5
	s_brev_b32 s4, 1
	v_lshlrev_b32_e32 v5, 30, v6
	v_cndmask_b32_e64 v4, -v7, v4, vcc
	v_bitop3_b32 v4, v5, v4, s4 bitop3:0x6c
	v_cndmask_b32_e64 v4, v11, v4, s[2:3]
	s_mov_b32 s2, 0xf800000
	v_mul_f32_e32 v5, 0x4f800000, v1
	v_cmp_gt_f32_e32 vcc, s2, v1
	v_div_fixup_f32 v3, v3, v9, v12
	v_mul_f32_e32 v3, v8, v3
	v_cndmask_b32_e32 v1, v1, v5, vcc
	v_sqrt_f32_e32 v5, v1
	v_mul_f32_e32 v3, v3, v4
	v_fmac_f32_e32 v3, v10, v2
	v_mul_f32_e32 v2, 0x3f4c422a, v3
	v_add_u32_e32 v3, -1, v5
	v_fma_f32 v4, -v3, v5, v1
	v_cmp_ge_f32_e64 s[2:3], 0, v4
	v_add_u32_e32 v4, 1, v5
	s_nop 0
	v_cndmask_b32_e64 v3, v5, v3, s[2:3]
	v_fma_f32 v5, -v4, v5, v1
	v_cmp_lt_f32_e64 s[2:3], 0, v5
	s_nop 1
	v_cndmask_b32_e64 v3, v3, v4, s[2:3]
	v_mul_f32_e32 v4, 0x37800000, v3
	v_cndmask_b32_e32 v3, v3, v4, vcc
	v_mov_b32_e32 v4, 0x260
	v_cmp_class_f32_e32 vcc, v1, v4
	s_nop 1
	v_cndmask_b32_e32 v1, v3, v1, vcc
	v_div_scale_f32 v3, s[2:3], v1, v1, v2
	v_rcp_f32_e32 v4, v3
	s_nop 0
	v_fma_f32 v5, -v3, v4, 1.0
	v_fmac_f32_e32 v4, v5, v4
	v_div_scale_f32 v5, vcc, v2, v1, v2
	v_mul_f32_e32 v6, v5, v4
	v_fma_f32 v7, -v3, v6, v5
	v_fmac_f32_e32 v6, v7, v4
	v_fma_f32 v3, -v3, v6, v5
	v_div_fmas_f32 v3, v3, v4, v6
	v_div_fixup_f32 v2, v3, v1, v2
.LBB22_329:
	s_or_b64 exec, exec, s[10:11]
	v_mov_b32_e32 v1, 0
	s_and_b32 s12, s73, 0xff
	s_cmp_lt_i32 s12, 11
	v_lshl_add_u64 v[0:1], s[20:21], 0, v[0:1]
	s_cbranch_scc1 .LBB22_336
; %bb.330:
	s_and_b32 s13, 0xffff, s12
	s_cmp_gt_i32 s13, 25
	s_cbranch_scc0 .LBB22_338
; %bb.331:
	s_cmp_gt_i32 s13, 28
	s_cbranch_scc0 .LBB22_340
; %bb.332:
	;; [unrolled: 3-line block ×4, first 2 shown]
	s_mov_b64 s[6:7], 0
	s_mov_b64 s[2:3], -1
	s_cmp_eq_u32 s13, 46
	s_mov_b64 s[4:5], 0
	s_cbranch_scc0 .LBB22_352
; %bb.335:
	v_bfe_u32 v3, v2, 16, 1
	s_movk_i32 s2, 0x7fff
	v_add3_u32 v3, v2, v3, s2
	v_cmp_o_f32_e32 vcc, v2, v2
	v_mov_b32_e32 v4, 0x7fc0
	s_mov_b64 s[4:5], -1
	v_cndmask_b32_sdwa v3, v4, v3, vcc dst_sel:DWORD dst_unused:UNUSED_PAD src0_sel:DWORD src1_sel:WORD_1
	global_store_dword v[0:1], v3, off
	s_mov_b64 s[2:3], 0
	s_branch .LBB22_352
.LBB22_336:
	s_mov_b64 s[6:7], -1
	s_mov_b64 s[4:5], 0
	s_mov_b64 s[2:3], s[54:55]
	s_branch .LBB22_421
.LBB22_337:
	s_mov_b64 s[4:5], -1
	s_mov_b64 s[2:3], 0
	s_mov_b64 s[8:9], s[56:57]
                                        ; implicit-def: $vgpr1
	s_branch .LBB22_470
.LBB22_338:
	s_mov_b64 s[6:7], -1
	s_mov_b64 s[4:5], 0
	s_mov_b64 s[2:3], s[54:55]
	s_branch .LBB22_379
.LBB22_339:
	s_mov_b64 s[4:5], -1
	s_mov_b64 s[2:3], 0
	s_mov_b64 s[8:9], s[56:57]
                                        ; implicit-def: $vgpr1
	s_branch .LBB22_465
.LBB22_340:
	s_mov_b64 s[6:7], -1
	s_mov_b64 s[4:5], 0
	s_mov_b64 s[2:3], s[54:55]
	s_branch .LBB22_362
.LBB22_341:
	s_andn2_saveexec_b64 s[10:11], s[10:11]
	s_cbranch_execz .LBB22_85
.LBB22_342:
	s_mov_b32 s14, 0x46000000
	v_add_f32_e64 v3, |v2|, s14
	v_and_b32_e32 v3, 0xff, v3
	v_cmp_ne_u32_e32 vcc, 0, v3
	s_andn2_b64 s[6:7], s[6:7], exec
	s_and_b64 s[14:15], vcc, exec
	s_or_b64 s[6:7], s[6:7], s[14:15]
	s_or_b64 exec, exec, s[10:11]
	v_mov_b32_e32 v4, 0
	s_and_saveexec_b64 s[10:11], s[6:7]
	s_cbranch_execnz .LBB22_86
	s_branch .LBB22_87
.LBB22_343:
	s_mov_b64 s[4:5], -1
	s_mov_b64 s[2:3], 0
	s_mov_b64 s[8:9], s[56:57]
                                        ; implicit-def: $vgpr1
	s_branch .LBB22_348
.LBB22_344:
	s_mov_b64 s[6:7], -1
	s_mov_b64 s[4:5], 0
	s_mov_b64 s[2:3], s[54:55]
	s_branch .LBB22_358
.LBB22_345:
	s_andn2_saveexec_b64 s[10:11], s[10:11]
	s_cbranch_execz .LBB22_98
.LBB22_346:
	s_mov_b32 s14, 0x42800000
	v_add_f32_e64 v3, |v2|, s14
	v_and_b32_e32 v3, 0xff, v3
	v_cmp_ne_u32_e32 vcc, 0, v3
	s_andn2_b64 s[6:7], s[6:7], exec
	s_and_b64 s[14:15], vcc, exec
	s_or_b64 s[6:7], s[6:7], s[14:15]
	s_or_b64 exec, exec, s[10:11]
	v_mov_b32_e32 v4, 0
	s_and_saveexec_b64 s[10:11], s[6:7]
	s_cbranch_execnz .LBB22_99
	s_branch .LBB22_100
.LBB22_347:
	s_mov_b64 s[8:9], -1
                                        ; implicit-def: $vgpr1
	s_mov_b64 s[2:3], 0
.LBB22_348:
	s_and_b64 vcc, exec, s[4:5]
	s_cbranch_vccz .LBB22_464
; %bb.349:
	s_cmp_eq_u32 s10, 44
	s_cbranch_scc0 .LBB22_463
; %bb.350:
	global_load_ubyte v1, v[2:3], off
	s_movk_i32 s4, 0xff
	v_mov_b32_e32 v4, 0x7f800001
	v_mov_b32_e32 v5, 0x400000
	s_mov_b64 s[2:3], -1
	s_mov_b64 s[8:9], 0
	s_waitcnt vmcnt(0)
	v_lshlrev_b32_e32 v6, 23, v1
	v_cmp_ne_u32_e32 vcc, s4, v1
	s_nop 1
	v_cndmask_b32_e32 v4, v4, v6, vcc
	v_cmp_ne_u32_e32 vcc, 0, v1
	s_nop 1
	v_cndmask_b32_e32 v1, v5, v4, vcc
	s_branch .LBB22_464
.LBB22_351:
	s_mov_b64 s[6:7], -1
	s_mov_b64 s[4:5], 0
	s_mov_b64 s[2:3], s[54:55]
.LBB22_352:
	s_and_b64 vcc, exec, s[6:7]
	s_cbranch_vccz .LBB22_357
; %bb.353:
	s_cmp_eq_u32 s13, 44
	s_mov_b64 s[2:3], -1
	s_cbranch_scc0 .LBB22_357
; %bb.354:
	v_bfe_u32 v3, v2, 23, 8
	s_movk_i32 s2, 0xff
	v_cmp_ne_u32_e32 vcc, s2, v3
	v_mov_b32_e32 v4, 0xff
	s_and_saveexec_b64 s[4:5], vcc
; %bb.355:
	s_mov_b32 s2, 0x3fffff
	v_and_b32_e32 v5, 0x400000, v2
	v_and_or_b32 v3, v2, s2, v3
	v_cmp_ne_u32_e32 vcc, 0, v5
	v_cmp_ne_u32_e64 s[2:3], 0, v3
	s_and_b64 s[2:3], vcc, s[2:3]
	v_lshrrev_b32_e32 v4, 23, v2
	v_cndmask_b32_e64 v3, 0, 1, s[2:3]
	v_add_u32_e32 v4, v4, v3
; %bb.356:
	s_or_b64 exec, exec, s[4:5]
	s_mov_b64 s[4:5], -1
	s_mov_b64 s[2:3], 0
	global_store_byte v[0:1], v4, off
.LBB22_357:
	s_mov_b64 s[6:7], 0
.LBB22_358:
	s_and_b64 vcc, exec, s[6:7]
	s_cbranch_vccz .LBB22_361
; %bb.359:
	s_cmp_eq_u32 s13, 29
	s_mov_b64 s[2:3], -1
	s_cbranch_scc0 .LBB22_361
; %bb.360:
	v_trunc_f32_e32 v3, v2
	v_mul_f32_e32 v4, 0x2f800000, v3
	v_floor_f32_e32 v4, v4
	v_fmamk_f32 v3, v4, 0xcf800000, v3
	v_cvt_u32_f32_e32 v5, v4
	v_cvt_u32_f32_e32 v4, v3
	s_mov_b64 s[4:5], -1
	s_mov_b64 s[2:3], 0
	s_mov_b64 s[6:7], 0
	global_store_dwordx2 v[0:1], v[4:5], off
	s_branch .LBB22_362
.LBB22_361:
	s_mov_b64 s[6:7], 0
.LBB22_362:
	s_and_b64 vcc, exec, s[6:7]
	s_cbranch_vccz .LBB22_378
; %bb.363:
	s_cmp_lt_i32 s13, 27
	s_mov_b64 s[4:5], -1
	s_cbranch_scc1 .LBB22_369
; %bb.364:
	v_cvt_u32_f32_e32 v3, v2
	s_cmp_gt_i32 s13, 27
	s_cbranch_scc0 .LBB22_366
; %bb.365:
	s_mov_b64 s[4:5], 0
	global_store_dword v[0:1], v3, off
.LBB22_366:
	s_andn2_b64 vcc, exec, s[4:5]
	s_cbranch_vccnz .LBB22_368
; %bb.367:
	global_store_short v[0:1], v3, off
.LBB22_368:
	s_mov_b64 s[4:5], 0
.LBB22_369:
	s_andn2_b64 vcc, exec, s[4:5]
	s_cbranch_vccnz .LBB22_377
; %bb.370:
	v_and_b32_e32 v3, 0x7fffffff, v2
	s_mov_b32 s4, 0x43800000
	v_cmp_gt_u32_e32 vcc, s4, v3
	v_mov_b32_e32 v4, 0x80
	s_and_saveexec_b64 s[4:5], vcc
	s_cbranch_execz .LBB22_376
; %bb.371:
	s_mov_b32 s6, 0x3bffffff
	v_cmp_lt_u32_e32 vcc, s6, v3
	s_mov_b64 s[6:7], 0
                                        ; implicit-def: $vgpr3
	s_and_saveexec_b64 s[10:11], vcc
	s_xor_b64 s[10:11], exec, s[10:11]
	s_cbranch_execz .LBB22_605
; %bb.372:
	v_bfe_u32 v3, v2, 20, 1
	s_mov_b32 s14, 0x487ffff
	v_add3_u32 v3, v2, v3, s14
	s_mov_b64 s[6:7], exec
	v_lshrrev_b32_e32 v3, 20, v3
	s_andn2_saveexec_b64 s[10:11], s[10:11]
	s_cbranch_execnz .LBB22_606
.LBB22_373:
	s_or_b64 exec, exec, s[10:11]
	v_mov_b32_e32 v4, 0
	s_and_saveexec_b64 s[10:11], s[6:7]
.LBB22_374:
	v_lshrrev_b32_e32 v4, 24, v2
	s_movk_i32 s6, 0x80
	v_and_or_b32 v4, v4, s6, v3
.LBB22_375:
	s_or_b64 exec, exec, s[10:11]
.LBB22_376:
	s_or_b64 exec, exec, s[4:5]
	global_store_byte v[0:1], v4, off
.LBB22_377:
	s_mov_b64 s[4:5], -1
.LBB22_378:
	s_mov_b64 s[6:7], 0
.LBB22_379:
	s_and_b64 vcc, exec, s[6:7]
	s_cbranch_vccz .LBB22_420
; %bb.380:
	s_cmp_gt_i32 s13, 22
	s_mov_b64 s[6:7], -1
	s_cbranch_scc0 .LBB22_412
; %bb.381:
	s_cmp_lt_i32 s13, 24
	s_mov_b64 s[4:5], -1
	s_cbranch_scc1 .LBB22_401
; %bb.382:
	s_cmp_gt_i32 s13, 24
	s_cbranch_scc0 .LBB22_390
; %bb.383:
	v_and_b32_e32 v3, 0x7fffffff, v2
	s_mov_b32 s4, 0x47800000
	v_cmp_gt_u32_e32 vcc, s4, v3
	v_mov_b32_e32 v4, 0x80
	s_and_saveexec_b64 s[4:5], vcc
	s_cbranch_execz .LBB22_389
; %bb.384:
	s_mov_b32 s6, 0x37ffffff
	v_cmp_lt_u32_e32 vcc, s6, v3
	s_mov_b64 s[6:7], 0
                                        ; implicit-def: $vgpr3
	s_and_saveexec_b64 s[10:11], vcc
	s_xor_b64 s[10:11], exec, s[10:11]
	s_cbranch_execz .LBB22_608
; %bb.385:
	v_bfe_u32 v3, v2, 21, 1
	s_mov_b32 s14, 0x88fffff
	v_add3_u32 v3, v2, v3, s14
	s_mov_b64 s[6:7], exec
	v_lshrrev_b32_e32 v3, 21, v3
	s_andn2_saveexec_b64 s[10:11], s[10:11]
	s_cbranch_execnz .LBB22_609
.LBB22_386:
	s_or_b64 exec, exec, s[10:11]
	v_mov_b32_e32 v4, 0
	s_and_saveexec_b64 s[10:11], s[6:7]
.LBB22_387:
	v_lshrrev_b32_e32 v4, 24, v2
	s_movk_i32 s6, 0x80
	v_and_or_b32 v4, v4, s6, v3
.LBB22_388:
	s_or_b64 exec, exec, s[10:11]
.LBB22_389:
	s_or_b64 exec, exec, s[4:5]
	s_mov_b64 s[4:5], 0
	global_store_byte v[0:1], v4, off
.LBB22_390:
	s_and_b64 vcc, exec, s[4:5]
	s_cbranch_vccz .LBB22_400
; %bb.391:
	v_and_b32_e32 v4, 0x7fffffff, v2
	s_mov_b32 s4, 0x43f00000
	v_cmp_gt_u32_e32 vcc, s4, v4
                                        ; implicit-def: $vgpr3
	s_and_saveexec_b64 s[4:5], vcc
	s_xor_b64 s[4:5], exec, s[4:5]
	s_cbranch_execz .LBB22_397
; %bb.392:
	s_mov_b32 s6, 0x3c7fffff
	v_cmp_lt_u32_e32 vcc, s6, v4
                                        ; implicit-def: $vgpr3
	s_and_saveexec_b64 s[6:7], vcc
	s_xor_b64 s[6:7], exec, s[6:7]
; %bb.393:
	v_bfe_u32 v3, v2, 20, 1
	s_mov_b32 s10, 0x407ffff
	v_add3_u32 v3, v2, v3, s10
	v_lshrrev_b32_e32 v4, 20, v3
	v_and_b32_e32 v3, 0xff00000, v3
	s_mov_b32 s10, 0x7f00000
	v_mov_b32_e32 v5, 0x7e
	v_cmp_ne_u32_e32 vcc, s10, v3
	s_nop 1
	v_cndmask_b32_e32 v3, v5, v4, vcc
; %bb.394:
	s_andn2_saveexec_b64 s[6:7], s[6:7]
; %bb.395:
	s_mov_b32 s10, 0x46800000
	v_add_f32_e64 v3, |v2|, s10
; %bb.396:
	s_or_b64 exec, exec, s[6:7]
                                        ; implicit-def: $vgpr4
.LBB22_397:
	s_andn2_saveexec_b64 s[4:5], s[4:5]
; %bb.398:
	s_mov_b32 s6, 0x7f800000
	v_mov_b32_e32 v3, 0x7e
	v_mov_b32_e32 v5, 0x7f
	v_cmp_lt_u32_e32 vcc, s6, v4
	s_nop 1
	v_cndmask_b32_e32 v3, v3, v5, vcc
; %bb.399:
	s_or_b64 exec, exec, s[4:5]
	v_lshrrev_b32_e32 v4, 24, v2
	s_movk_i32 s4, 0x80
	v_and_or_b32 v3, v4, s4, v3
	global_store_byte v[0:1], v3, off
.LBB22_400:
	s_mov_b64 s[4:5], 0
.LBB22_401:
	s_andn2_b64 vcc, exec, s[4:5]
	s_cbranch_vccnz .LBB22_411
; %bb.402:
	v_and_b32_e32 v4, 0x7fffffff, v2
	s_mov_b32 s4, 0x47800000
	v_cmp_gt_u32_e32 vcc, s4, v4
                                        ; implicit-def: $vgpr3
	s_and_saveexec_b64 s[4:5], vcc
	s_xor_b64 s[4:5], exec, s[4:5]
	s_cbranch_execz .LBB22_408
; %bb.403:
	s_mov_b32 s6, 0x387fffff
	v_cmp_lt_u32_e32 vcc, s6, v4
                                        ; implicit-def: $vgpr3
	s_and_saveexec_b64 s[6:7], vcc
	s_xor_b64 s[6:7], exec, s[6:7]
; %bb.404:
	v_bfe_u32 v3, v2, 21, 1
	s_mov_b32 s10, 0x80fffff
	v_add3_u32 v3, v2, v3, s10
	v_lshrrev_b32_e32 v3, 21, v3
; %bb.405:
	s_andn2_saveexec_b64 s[6:7], s[6:7]
; %bb.406:
	s_mov_b32 s10, 0x43000000
	v_add_f32_e64 v3, |v2|, s10
; %bb.407:
	s_or_b64 exec, exec, s[6:7]
                                        ; implicit-def: $vgpr4
.LBB22_408:
	s_andn2_saveexec_b64 s[4:5], s[4:5]
; %bb.409:
	s_mov_b32 s6, 0x7f800000
	v_mov_b32_e32 v3, 0x7c
	v_mov_b32_e32 v5, 0x7f
	v_cmp_lt_u32_e32 vcc, s6, v4
	s_nop 1
	v_cndmask_b32_e32 v3, v3, v5, vcc
; %bb.410:
	s_or_b64 exec, exec, s[4:5]
	v_lshrrev_b32_e32 v4, 24, v2
	s_movk_i32 s4, 0x80
	v_and_or_b32 v3, v4, s4, v3
	global_store_byte v[0:1], v3, off
.LBB22_411:
	s_mov_b64 s[6:7], 0
	s_mov_b64 s[4:5], -1
.LBB22_412:
	s_andn2_b64 vcc, exec, s[6:7]
	s_cbranch_vccnz .LBB22_420
; %bb.413:
	s_cmp_gt_i32 s13, 14
	s_mov_b64 s[6:7], -1
	s_cbranch_scc0 .LBB22_417
; %bb.414:
	s_cmp_eq_u32 s13, 15
	s_mov_b64 s[2:3], -1
	s_cbranch_scc0 .LBB22_416
; %bb.415:
	v_bfe_u32 v3, v2, 16, 1
	s_movk_i32 s2, 0x7fff
	v_add3_u32 v3, v2, v3, s2
	v_cmp_o_f32_e32 vcc, v2, v2
	v_mov_b32_e32 v4, 0x7fc0
	s_mov_b64 s[4:5], -1
	v_cndmask_b32_sdwa v3, v4, v3, vcc dst_sel:DWORD dst_unused:UNUSED_PAD src0_sel:DWORD src1_sel:WORD_1
	global_store_short v[0:1], v3, off
	s_mov_b64 s[2:3], 0
.LBB22_416:
	s_mov_b64 s[6:7], 0
.LBB22_417:
	s_and_b64 vcc, exec, s[6:7]
	s_cbranch_vccz .LBB22_420
; %bb.418:
	s_cmp_eq_u32 s13, 11
	s_mov_b64 s[2:3], -1
	s_cbranch_scc0 .LBB22_420
; %bb.419:
	v_cmp_neq_f32_e32 vcc, 0, v2
	s_mov_b64 s[4:5], -1
	s_mov_b64 s[2:3], 0
	v_cndmask_b32_e64 v3, 0, 1, vcc
	global_store_byte v[0:1], v3, off
.LBB22_420:
	s_mov_b64 s[6:7], 0
.LBB22_421:
	s_and_b64 vcc, exec, s[6:7]
	s_cbranch_vccz .LBB22_460
; %bb.422:
	s_and_b32 s6, 0xffff, s12
	s_cmp_lt_i32 s6, 5
	s_mov_b64 s[4:5], -1
	s_cbranch_scc1 .LBB22_443
; %bb.423:
	s_cmp_lt_i32 s6, 8
	s_cbranch_scc1 .LBB22_433
; %bb.424:
	s_cmp_lt_i32 s6, 9
	s_cbranch_scc1 .LBB22_430
; %bb.425:
	s_cmp_gt_i32 s6, 9
	s_cbranch_scc0 .LBB22_427
; %bb.426:
	v_mov_b32_e32 v6, 0
	v_cvt_f64_f32_e32 v[4:5], v2
	v_mov_b32_e32 v7, v6
	s_mov_b64 s[4:5], 0
	global_store_dwordx4 v[0:1], v[4:7], off
.LBB22_427:
	s_andn2_b64 vcc, exec, s[4:5]
	s_cbranch_vccnz .LBB22_429
; %bb.428:
	v_mov_b32_e32 v3, 0
	global_store_dwordx2 v[0:1], v[2:3], off
.LBB22_429:
	s_mov_b64 s[4:5], 0
.LBB22_430:
	s_andn2_b64 vcc, exec, s[4:5]
	s_cbranch_vccnz .LBB22_432
; %bb.431:
	v_cvt_f16_f32_e32 v3, v2
	global_store_dword v[0:1], v3, off
.LBB22_432:
	s_mov_b64 s[4:5], 0
.LBB22_433:
	s_andn2_b64 vcc, exec, s[4:5]
	s_cbranch_vccnz .LBB22_442
; %bb.434:
	s_cmp_lt_i32 s6, 6
	s_mov_b64 s[4:5], -1
	s_cbranch_scc1 .LBB22_440
; %bb.435:
	s_cmp_gt_i32 s6, 6
	s_cbranch_scc0 .LBB22_437
; %bb.436:
	v_cvt_f64_f32_e32 v[4:5], v2
	s_mov_b64 s[4:5], 0
	global_store_dwordx2 v[0:1], v[4:5], off
.LBB22_437:
	s_andn2_b64 vcc, exec, s[4:5]
	s_cbranch_vccnz .LBB22_439
; %bb.438:
	global_store_dword v[0:1], v2, off
.LBB22_439:
	s_mov_b64 s[4:5], 0
.LBB22_440:
	s_andn2_b64 vcc, exec, s[4:5]
	s_cbranch_vccnz .LBB22_442
; %bb.441:
	v_cvt_f16_f32_e32 v3, v2
	global_store_short v[0:1], v3, off
.LBB22_442:
	s_mov_b64 s[4:5], 0
.LBB22_443:
	s_andn2_b64 vcc, exec, s[4:5]
	s_cbranch_vccnz .LBB22_459
; %bb.444:
	s_cmp_lt_i32 s6, 2
	s_mov_b64 s[4:5], -1
	s_cbranch_scc1 .LBB22_454
; %bb.445:
	s_cmp_lt_i32 s6, 3
	s_cbranch_scc1 .LBB22_451
; %bb.446:
	s_cmp_gt_i32 s6, 3
	s_cbranch_scc0 .LBB22_448
; %bb.447:
	v_trunc_f32_e32 v3, v2
	s_mov_b32 s4, 0x2f800000
	v_mul_f32_e64 v4, |v3|, s4
	v_floor_f32_e32 v4, v4
	s_mov_b32 s4, 0xcf800000
	v_cvt_u32_f32_e32 v5, v4
	v_fma_f32 v4, v4, s4, |v3|
	v_cvt_u32_f32_e32 v4, v4
	v_ashrrev_i32_e32 v3, 31, v3
	v_xor_b32_e32 v5, v5, v3
	s_mov_b64 s[4:5], 0
	v_xor_b32_e32 v4, v4, v3
	v_sub_co_u32_e32 v4, vcc, v4, v3
	s_nop 1
	v_subb_co_u32_e32 v5, vcc, v5, v3, vcc
	global_store_dwordx2 v[0:1], v[4:5], off
.LBB22_448:
	s_andn2_b64 vcc, exec, s[4:5]
	s_cbranch_vccnz .LBB22_450
; %bb.449:
	v_cvt_i32_f32_e32 v3, v2
	global_store_dword v[0:1], v3, off
.LBB22_450:
	s_mov_b64 s[4:5], 0
.LBB22_451:
	s_andn2_b64 vcc, exec, s[4:5]
	s_cbranch_vccnz .LBB22_453
; %bb.452:
	v_cvt_i32_f32_e32 v3, v2
	global_store_short v[0:1], v3, off
.LBB22_453:
	s_mov_b64 s[4:5], 0
.LBB22_454:
	s_andn2_b64 vcc, exec, s[4:5]
	s_cbranch_vccnz .LBB22_459
; %bb.455:
	s_cmp_gt_i32 s6, 0
	s_mov_b64 s[4:5], -1
	s_cbranch_scc0 .LBB22_457
; %bb.456:
	v_cvt_i32_f32_e32 v3, v2
	s_mov_b64 s[4:5], 0
	global_store_byte v[0:1], v3, off
.LBB22_457:
	s_andn2_b64 vcc, exec, s[4:5]
	s_cbranch_vccnz .LBB22_459
; %bb.458:
	v_trunc_f32_e32 v2, v2
	s_mov_b32 s4, 0x2f800000
	v_mul_f32_e64 v3, |v2|, s4
	v_floor_f32_e32 v3, v3
	s_mov_b32 s4, 0xcf800000
	v_fma_f32 v3, v3, s4, |v2|
	v_cvt_u32_f32_e32 v3, v3
	v_ashrrev_i32_e32 v2, 31, v2
	v_xor_b32_e32 v3, v3, v2
	v_sub_u32_e32 v2, v3, v2
	global_store_byte v[0:1], v2, off
.LBB22_459:
	s_mov_b64 s[4:5], -1
.LBB22_460:
	s_andn2_b64 vcc, exec, s[4:5]
	s_cbranch_vccnz .LBB22_462
; %bb.461:
	v_add_u32_e32 v13, 0x80, v13
	s_mov_b64 s[4:5], -1
	s_branch .LBB22_575
.LBB22_462:
	s_mov_b64 s[4:5], 0
	s_branch .LBB22_574
.LBB22_463:
	s_mov_b64 s[8:9], -1
                                        ; implicit-def: $vgpr1
.LBB22_464:
	s_mov_b64 s[4:5], 0
.LBB22_465:
	s_and_b64 vcc, exec, s[4:5]
	s_cbranch_vccz .LBB22_469
; %bb.466:
	s_cmp_eq_u32 s10, 29
	s_cbranch_scc0 .LBB22_468
; %bb.467:
	global_load_dwordx2 v[4:5], v[2:3], off
	s_mov_b64 s[2:3], -1
	s_mov_b64 s[8:9], 0
	s_mov_b64 s[4:5], 0
	s_waitcnt vmcnt(0)
	v_ffbh_u32_e32 v1, v5
	v_min_u32_e32 v1, 32, v1
	v_lshlrev_b64 v[4:5], v1, v[4:5]
	v_min_u32_e32 v4, 1, v4
	v_or_b32_e32 v4, v5, v4
	v_cvt_f32_u32_e32 v4, v4
	v_sub_u32_e32 v1, 32, v1
	v_ldexp_f32 v1, v4, v1
	s_branch .LBB22_470
.LBB22_468:
	s_mov_b64 s[8:9], -1
                                        ; implicit-def: $vgpr1
.LBB22_469:
	s_mov_b64 s[4:5], 0
.LBB22_470:
	s_and_b64 vcc, exec, s[4:5]
	s_cbranch_vccz .LBB22_488
; %bb.471:
	s_cmp_lt_i32 s10, 27
	s_cbranch_scc1 .LBB22_474
; %bb.472:
	s_cmp_gt_i32 s10, 27
	s_cbranch_scc0 .LBB22_475
; %bb.473:
	global_load_dword v1, v[2:3], off
	s_mov_b64 s[2:3], 0
	s_waitcnt vmcnt(0)
	v_cvt_f32_u32_e32 v1, v1
	s_branch .LBB22_476
.LBB22_474:
	s_mov_b64 s[2:3], -1
                                        ; implicit-def: $vgpr1
	s_branch .LBB22_479
.LBB22_475:
	s_mov_b64 s[2:3], -1
                                        ; implicit-def: $vgpr1
.LBB22_476:
	s_andn2_b64 vcc, exec, s[2:3]
	s_cbranch_vccnz .LBB22_478
; %bb.477:
	global_load_ushort v1, v[2:3], off
	s_waitcnt vmcnt(0)
	v_cvt_f32_u32_e32 v1, v1
.LBB22_478:
	s_mov_b64 s[2:3], 0
.LBB22_479:
	s_andn2_b64 vcc, exec, s[2:3]
	s_cbranch_vccnz .LBB22_487
; %bb.480:
	global_load_ubyte v4, v[2:3], off
	s_movk_i32 s2, 0x7f
	s_waitcnt vmcnt(0)
	v_cmp_lt_i16_e32 vcc, s2, v4
	s_mov_b64 s[2:3], 0
	s_and_saveexec_b64 s[4:5], vcc
	s_xor_b64 s[4:5], exec, s[4:5]
	s_cbranch_execz .LBB22_501
; %bb.481:
	s_movk_i32 s2, 0x80
	v_cmp_eq_u16_e32 vcc, s2, v4
	s_mov_b64 s[2:3], -1
	s_and_saveexec_b64 s[6:7], vcc
; %bb.482:
	s_xor_b64 s[2:3], exec, -1
; %bb.483:
	s_or_b64 exec, exec, s[6:7]
	s_and_b64 s[2:3], s[2:3], exec
	s_or_saveexec_b64 s[4:5], s[4:5]
	v_mov_b32_e32 v1, 0x7f800001
	s_xor_b64 exec, exec, s[4:5]
	s_cbranch_execnz .LBB22_502
.LBB22_484:
	s_or_b64 exec, exec, s[4:5]
	s_and_saveexec_b64 s[4:5], s[2:3]
	s_cbranch_execz .LBB22_486
.LBB22_485:
	v_lshlrev_b32_e32 v1, 24, v4
	v_and_b32_e32 v4, 0xffff, v4
	v_and_b32_e32 v5, 7, v4
	v_ffbh_u32_e32 v7, v5
	v_min_u32_e32 v7, 32, v7
	v_subrev_u32_e32 v8, 28, v7
	v_bfe_u32 v6, v4, 3, 4
	v_lshlrev_b32_e32 v4, v8, v4
	v_sub_u32_e32 v7, 29, v7
	v_and_b32_e32 v4, 7, v4
	v_cmp_eq_u32_e32 vcc, 0, v6
	v_and_b32_e32 v1, 0x80000000, v1
	s_nop 0
	v_cndmask_b32_e32 v6, v6, v7, vcc
	v_cndmask_b32_e32 v4, v5, v4, vcc
	v_mov_b32_e32 v5, 0x3b800000
	v_lshlrev_b32_e32 v4, 20, v4
	v_lshl_add_u32 v5, v6, 23, v5
	v_or3_b32 v1, v1, v5, v4
.LBB22_486:
	s_or_b64 exec, exec, s[4:5]
.LBB22_487:
	s_mov_b64 s[2:3], -1
.LBB22_488:
	s_mov_b64 s[4:5], 0
.LBB22_489:
	s_and_b64 vcc, exec, s[4:5]
	s_cbranch_vccz .LBB22_524
; %bb.490:
	s_cmp_gt_i32 s10, 22
	s_cbranch_scc0 .LBB22_500
; %bb.491:
	s_cmp_lt_i32 s10, 24
	s_cbranch_scc1 .LBB22_503
; %bb.492:
	s_cmp_gt_i32 s10, 24
	s_cbranch_scc0 .LBB22_504
; %bb.493:
	global_load_ubyte v4, v[2:3], off
	s_movk_i32 s2, 0x7f
	s_waitcnt vmcnt(0)
	v_cmp_lt_i16_e32 vcc, s2, v4
	s_mov_b64 s[2:3], 0
	s_and_saveexec_b64 s[4:5], vcc
	s_xor_b64 s[4:5], exec, s[4:5]
	s_cbranch_execz .LBB22_516
; %bb.494:
	s_movk_i32 s2, 0x80
	v_cmp_eq_u16_e32 vcc, s2, v4
	s_mov_b64 s[2:3], -1
	s_and_saveexec_b64 s[6:7], vcc
; %bb.495:
	s_xor_b64 s[2:3], exec, -1
; %bb.496:
	s_or_b64 exec, exec, s[6:7]
	s_and_b64 s[2:3], s[2:3], exec
	s_or_saveexec_b64 s[4:5], s[4:5]
	v_mov_b32_e32 v1, 0x7f800001
	s_xor_b64 exec, exec, s[4:5]
	s_cbranch_execnz .LBB22_517
.LBB22_497:
	s_or_b64 exec, exec, s[4:5]
	s_and_saveexec_b64 s[4:5], s[2:3]
	s_cbranch_execz .LBB22_499
.LBB22_498:
	v_lshlrev_b32_e32 v1, 24, v4
	v_and_b32_e32 v4, 0xffff, v4
	v_and_b32_e32 v5, 3, v4
	v_ffbh_u32_e32 v7, v5
	v_min_u32_e32 v7, 32, v7
	v_subrev_u32_e32 v8, 29, v7
	v_bfe_u32 v6, v4, 2, 5
	v_lshlrev_b32_e32 v4, v8, v4
	v_sub_u32_e32 v7, 30, v7
	v_and_b32_e32 v4, 3, v4
	v_cmp_eq_u32_e32 vcc, 0, v6
	v_and_b32_e32 v1, 0x80000000, v1
	s_nop 0
	v_cndmask_b32_e32 v6, v6, v7, vcc
	v_cndmask_b32_e32 v4, v5, v4, vcc
	v_mov_b32_e32 v5, 0x37800000
	v_lshlrev_b32_e32 v4, 21, v4
	v_lshl_add_u32 v5, v6, 23, v5
	v_or3_b32 v1, v1, v5, v4
.LBB22_499:
	s_or_b64 exec, exec, s[4:5]
	s_mov_b64 s[2:3], 0
	s_branch .LBB22_505
.LBB22_500:
	s_mov_b64 s[4:5], -1
                                        ; implicit-def: $vgpr1
	s_branch .LBB22_511
.LBB22_501:
	s_or_saveexec_b64 s[4:5], s[4:5]
	v_mov_b32_e32 v1, 0x7f800001
	s_xor_b64 exec, exec, s[4:5]
	s_cbranch_execz .LBB22_484
.LBB22_502:
	v_cmp_ne_u16_e32 vcc, 0, v4
	s_andn2_b64 s[2:3], s[2:3], exec
	s_and_b64 s[6:7], vcc, exec
	v_mov_b32_e32 v1, 0
	s_or_b64 s[2:3], s[2:3], s[6:7]
	s_or_b64 exec, exec, s[4:5]
	s_and_saveexec_b64 s[4:5], s[2:3]
	s_cbranch_execnz .LBB22_485
	s_branch .LBB22_486
.LBB22_503:
	s_mov_b64 s[2:3], -1
                                        ; implicit-def: $vgpr1
	s_branch .LBB22_508
.LBB22_504:
	s_mov_b64 s[2:3], -1
                                        ; implicit-def: $vgpr1
.LBB22_505:
	s_and_b64 vcc, exec, s[2:3]
	s_cbranch_vccz .LBB22_507
; %bb.506:
	global_load_ubyte v1, v[2:3], off
	s_mov_b32 s2, 0x7f800000
	s_waitcnt vmcnt(0)
	v_lshlrev_b32_e32 v1, 24, v1
	v_and_b32_e32 v4, 0x7f000000, v1
	v_ffbh_u32_e32 v5, v4
	v_min_u32_e32 v5, 32, v5
	v_sub_u32_e64 v5, v5, 4 clamp
	v_lshlrev_b32_e32 v7, v5, v4
	v_lshlrev_b32_e32 v5, 23, v5
	v_lshrrev_b32_e32 v7, 4, v7
	v_add_u32_e32 v6, 0x1000000, v4
	v_sub_u32_e32 v5, v7, v5
	v_ashrrev_i32_e32 v6, 8, v6
	v_add_u32_e32 v5, 0x3c000000, v5
	v_and_or_b32 v5, v6, s2, v5
	v_cmp_ne_u32_e32 vcc, 0, v4
	s_brev_b32 s2, 1
	s_nop 0
	v_cndmask_b32_e32 v4, 0, v5, vcc
	v_and_or_b32 v1, v1, s2, v4
.LBB22_507:
	s_mov_b64 s[2:3], 0
.LBB22_508:
	s_andn2_b64 vcc, exec, s[2:3]
	s_cbranch_vccnz .LBB22_510
; %bb.509:
	global_load_ubyte v1, v[2:3], off
	s_movk_i32 s2, 0x7f00
	s_brev_b32 s3, 16
	s_waitcnt vmcnt(0)
	v_lshlrev_b16_e32 v4, 8, v1
	v_lshlrev_b32_e32 v1, 25, v1
	v_lshrrev_b32_e32 v5, 4, v1
	v_and_or_b32 v6, v4, s2, 0.5
	v_or_b32_e32 v5, 0x70000000, v5
	v_add_f32_e32 v6, -0.5, v6
	v_mul_f32_e32 v5, 0x7800000, v5
	v_cmp_gt_u32_e32 vcc, s3, v1
	v_bfe_i32 v4, v4, 0, 16
	s_brev_b32 s2, 1
	v_cndmask_b32_e32 v1, v5, v6, vcc
	v_and_or_b32 v1, v4, s2, v1
.LBB22_510:
	s_mov_b64 s[4:5], 0
	s_mov_b64 s[2:3], -1
.LBB22_511:
	s_andn2_b64 vcc, exec, s[4:5]
	s_cbranch_vccnz .LBB22_524
; %bb.512:
	s_cmp_gt_i32 s10, 14
	s_cbranch_scc0 .LBB22_515
; %bb.513:
	s_cmp_eq_u32 s10, 15
	s_cbranch_scc0 .LBB22_518
; %bb.514:
	global_load_ushort v1, v[2:3], off
	s_mov_b64 s[2:3], -1
	s_mov_b64 s[8:9], 0
	s_waitcnt vmcnt(0)
	v_lshlrev_b32_e32 v1, 16, v1
	s_branch .LBB22_519
.LBB22_515:
	s_mov_b64 s[4:5], -1
                                        ; implicit-def: $vgpr1
	s_branch .LBB22_520
.LBB22_516:
	s_or_saveexec_b64 s[4:5], s[4:5]
	v_mov_b32_e32 v1, 0x7f800001
	s_xor_b64 exec, exec, s[4:5]
	s_cbranch_execz .LBB22_497
.LBB22_517:
	v_cmp_ne_u16_e32 vcc, 0, v4
	s_andn2_b64 s[2:3], s[2:3], exec
	s_and_b64 s[6:7], vcc, exec
	v_mov_b32_e32 v1, 0
	s_or_b64 s[2:3], s[2:3], s[6:7]
	s_or_b64 exec, exec, s[4:5]
	s_and_saveexec_b64 s[4:5], s[2:3]
	s_cbranch_execnz .LBB22_498
	s_branch .LBB22_499
.LBB22_518:
	s_mov_b64 s[8:9], -1
                                        ; implicit-def: $vgpr1
.LBB22_519:
	s_mov_b64 s[4:5], 0
.LBB22_520:
	s_and_b64 vcc, exec, s[4:5]
	s_cbranch_vccz .LBB22_524
; %bb.521:
	s_cmp_eq_u32 s10, 11
	s_cbranch_scc0 .LBB22_523
; %bb.522:
	global_load_ubyte v1, v[2:3], off
	s_mov_b64 s[2:3], -1
	s_mov_b64 s[8:9], 0
	s_waitcnt vmcnt(0)
	v_cmp_ne_u16_e32 vcc, 0, v1
	s_nop 1
	v_cndmask_b32_e64 v1, 0, 1.0, vcc
	s_branch .LBB22_524
.LBB22_523:
	s_mov_b64 s[8:9], -1
                                        ; implicit-def: $vgpr1
.LBB22_524:
	s_branch .LBB22_311
.LBB22_525:
	s_cmp_lt_i32 s10, 5
	s_cbranch_scc1 .LBB22_530
; %bb.526:
	s_cmp_lt_i32 s10, 8
	s_cbranch_scc1 .LBB22_531
; %bb.527:
	;; [unrolled: 3-line block ×3, first 2 shown]
	s_cmp_gt_i32 s10, 9
	s_cbranch_scc0 .LBB22_533
; %bb.529:
	global_load_dwordx2 v[4:5], v[2:3], off
	s_mov_b64 s[2:3], 0
	s_waitcnt vmcnt(0)
	v_cvt_f32_f64_e32 v1, v[4:5]
	s_branch .LBB22_534
.LBB22_530:
	s_mov_b64 s[2:3], -1
                                        ; implicit-def: $vgpr1
	s_branch .LBB22_552
.LBB22_531:
	s_mov_b64 s[2:3], -1
                                        ; implicit-def: $vgpr1
	s_branch .LBB22_540
.LBB22_532:
	s_mov_b64 s[2:3], -1
                                        ; implicit-def: $vgpr1
	s_branch .LBB22_537
.LBB22_533:
	s_mov_b64 s[2:3], -1
                                        ; implicit-def: $vgpr1
.LBB22_534:
	s_andn2_b64 vcc, exec, s[2:3]
	s_cbranch_vccnz .LBB22_536
; %bb.535:
	global_load_dword v1, v[2:3], off
.LBB22_536:
	s_mov_b64 s[2:3], 0
.LBB22_537:
	s_andn2_b64 vcc, exec, s[2:3]
	s_cbranch_vccnz .LBB22_539
; %bb.538:
	global_load_dword v1, v[2:3], off
	s_waitcnt vmcnt(0)
	v_cvt_f32_f16_e32 v1, v1
.LBB22_539:
	s_mov_b64 s[2:3], 0
.LBB22_540:
	s_andn2_b64 vcc, exec, s[2:3]
	s_cbranch_vccnz .LBB22_551
; %bb.541:
	s_cmp_lt_i32 s10, 6
	s_cbranch_scc1 .LBB22_544
; %bb.542:
	s_cmp_gt_i32 s10, 6
	s_cbranch_scc0 .LBB22_545
; %bb.543:
	global_load_dwordx2 v[4:5], v[2:3], off
	s_mov_b64 s[2:3], 0
	s_waitcnt vmcnt(0)
	v_cvt_f32_f64_e32 v1, v[4:5]
	s_branch .LBB22_546
.LBB22_544:
	s_mov_b64 s[2:3], -1
                                        ; implicit-def: $vgpr1
	s_branch .LBB22_549
.LBB22_545:
	s_mov_b64 s[2:3], -1
                                        ; implicit-def: $vgpr1
.LBB22_546:
	s_andn2_b64 vcc, exec, s[2:3]
	s_cbranch_vccnz .LBB22_548
; %bb.547:
	global_load_dword v1, v[2:3], off
.LBB22_548:
	s_mov_b64 s[2:3], 0
.LBB22_549:
	s_andn2_b64 vcc, exec, s[2:3]
	s_cbranch_vccnz .LBB22_551
; %bb.550:
	global_load_ushort v1, v[2:3], off
	s_waitcnt vmcnt(0)
	v_cvt_f32_f16_e32 v1, v1
.LBB22_551:
	s_mov_b64 s[2:3], 0
.LBB22_552:
	s_andn2_b64 vcc, exec, s[2:3]
	s_cbranch_vccnz .LBB22_572
; %bb.553:
	s_cmp_lt_i32 s10, 2
	s_cbranch_scc1 .LBB22_557
; %bb.554:
	s_cmp_lt_i32 s10, 3
	s_cbranch_scc1 .LBB22_558
; %bb.555:
	s_cmp_gt_i32 s10, 3
	s_cbranch_scc0 .LBB22_559
; %bb.556:
	global_load_dwordx2 v[4:5], v[2:3], off
	s_mov_b64 s[2:3], 0
	s_waitcnt vmcnt(0)
	v_xor_b32_e32 v6, v4, v5
	v_ffbh_i32_e32 v1, v5
	v_ashrrev_i32_e32 v6, 31, v6
	v_add_u32_e32 v1, -1, v1
	v_add_u32_e32 v6, 32, v6
	v_min_u32_e32 v1, v1, v6
	v_lshlrev_b64 v[4:5], v1, v[4:5]
	v_min_u32_e32 v4, 1, v4
	v_or_b32_e32 v4, v5, v4
	v_cvt_f32_i32_e32 v4, v4
	v_sub_u32_e32 v1, 32, v1
	v_ldexp_f32 v1, v4, v1
	s_branch .LBB22_560
.LBB22_557:
	s_mov_b64 s[2:3], -1
                                        ; implicit-def: $vgpr1
	s_branch .LBB22_566
.LBB22_558:
	s_mov_b64 s[2:3], -1
                                        ; implicit-def: $vgpr1
	s_branch .LBB22_563
.LBB22_559:
	s_mov_b64 s[2:3], -1
                                        ; implicit-def: $vgpr1
.LBB22_560:
	s_andn2_b64 vcc, exec, s[2:3]
	s_cbranch_vccnz .LBB22_562
; %bb.561:
	global_load_dword v1, v[2:3], off
	s_waitcnt vmcnt(0)
	v_cvt_f32_i32_e32 v1, v1
.LBB22_562:
	s_mov_b64 s[2:3], 0
.LBB22_563:
	s_andn2_b64 vcc, exec, s[2:3]
	s_cbranch_vccnz .LBB22_565
; %bb.564:
	global_load_sshort v1, v[2:3], off
	s_waitcnt vmcnt(0)
	v_cvt_f32_i32_e32 v1, v1
.LBB22_565:
	s_mov_b64 s[2:3], 0
.LBB22_566:
	s_andn2_b64 vcc, exec, s[2:3]
	s_cbranch_vccnz .LBB22_572
; %bb.567:
	s_cmp_gt_i32 s10, 0
	s_cbranch_scc0 .LBB22_569
; %bb.568:
	global_load_sbyte v1, v[2:3], off
	s_mov_b64 s[2:3], 0
	s_waitcnt vmcnt(0)
	v_cvt_f32_i32_e32 v1, v1
	s_branch .LBB22_570
.LBB22_569:
	s_mov_b64 s[2:3], -1
                                        ; implicit-def: $vgpr1
.LBB22_570:
	s_andn2_b64 vcc, exec, s[2:3]
	s_cbranch_vccnz .LBB22_572
; %bb.571:
	global_load_ubyte v1, v[2:3], off
	s_waitcnt vmcnt(0)
	v_cvt_f32_ubyte0_e32 v1, v1
.LBB22_572:
	s_branch .LBB22_312
.LBB22_573:
	s_mov_b64 s[4:5], 0
	s_mov_b64 s[2:3], s[54:55]
.LBB22_574:
                                        ; implicit-def: $vgpr13
.LBB22_575:
	s_andn2_b64 s[6:7], s[54:55], exec
	s_and_b64 s[2:3], s[2:3], exec
	s_or_b64 s[62:63], s[6:7], s[2:3]
	s_andn2_b64 s[2:3], s[56:57], exec
	s_and_b64 s[6:7], s[8:9], exec
	s_or_b64 s[60:61], s[2:3], s[6:7]
	s_orn2_b64 s[2:3], s[4:5], exec
.LBB22_576:
	s_or_b64 exec, exec, s[64:65]
	s_mov_b64 s[4:5], 0
	s_mov_b64 s[6:7], 0
	s_mov_b64 s[8:9], 0
                                        ; implicit-def: $vgpr2_vgpr3
                                        ; implicit-def: $vgpr0
                                        ; implicit-def: $vgpr1
	s_and_saveexec_b64 s[64:65], s[2:3]
	s_cbranch_execz .LBB22_969
; %bb.577:
	v_cmp_gt_i32_e32 vcc, s70, v13
	s_mov_b64 s[6:7], -1
	s_mov_b64 s[2:3], s[60:61]
	s_mov_b64 s[68:69], s[62:63]
	s_and_saveexec_b64 s[66:67], vcc
	s_cbranch_execz .LBB22_868
; %bb.578:
	s_andn2_b64 vcc, exec, s[42:43]
	s_cbranch_vccnz .LBB22_584
; %bb.579:
	s_andn2_b64 vcc, exec, s[52:53]
	s_cbranch_vccnz .LBB22_585
; %bb.580:
	s_add_i32 s76, s75, 1
	s_cmp_eq_u32 s72, 2
	s_cbranch_scc1 .LBB22_586
; %bb.581:
	s_and_b32 s71, s76, 28
	s_mov_b32 s77, 0
	v_mov_b32_e32 v0, 0
	v_mov_b32_e32 v2, 0
	s_mov_b64 s[2:3], s[34:35]
	s_mov_b64 s[68:69], s[50:51]
	v_mov_b32_e32 v4, v13
.LBB22_582:                             ; =>This Inner Loop Header: Depth=1
	s_load_dwordx8 s[12:19], s[2:3], 0x4
	s_load_dwordx4 s[36:39], s[2:3], 0x24
	s_load_dwordx8 s[4:11], s[68:69], 0x0
	s_add_u32 s2, s2, 48
	s_addc_u32 s3, s3, 0
	s_waitcnt vmcnt(0) lgkmcnt(0)
	v_mul_hi_u32 v1, s13, v4
	v_add_u32_e32 v1, v4, v1
	v_lshrrev_b32_e32 v1, s14, v1
	v_mul_lo_u32 v3, v1, s12
	v_mul_hi_u32 v5, s16, v1
	v_sub_u32_e32 v3, v4, v3
	v_add_u32_e32 v4, v1, v5
	v_lshrrev_b32_e32 v4, s17, v4
	v_mul_lo_u32 v6, v4, s15
	v_mul_hi_u32 v7, s19, v4
	v_sub_u32_e32 v1, v1, v6
	v_add_u32_e32 v6, v4, v7
	v_mul_lo_u32 v5, v3, s5
	v_mul_lo_u32 v3, v3, s4
	;; [unrolled: 1-line block ×4, first 2 shown]
	v_lshrrev_b32_e32 v6, s36, v6
	v_add3_u32 v0, v3, v0, v1
	v_mul_hi_u32 v3, s38, v6
	v_add3_u32 v1, v5, v2, v7
	v_mul_lo_u32 v2, v6, s18
	v_add_u32_e32 v3, v6, v3
	v_sub_u32_e32 v2, v4, v2
	v_lshrrev_b32_e32 v4, s39, v3
	s_add_i32 s77, s77, 4
	v_mul_lo_u32 v3, v4, s37
	s_add_u32 s68, s68, 32
	v_sub_u32_e32 v3, v6, v3
	s_addc_u32 s69, s69, 0
	v_mul_lo_u32 v5, v2, s8
	v_mul_lo_u32 v2, v2, s9
	;; [unrolled: 1-line block ×4, first 2 shown]
	s_cmp_eq_u32 s71, s77
	v_add3_u32 v2, v2, v1, v3
	v_add3_u32 v0, v5, v0, v6
	s_cbranch_scc0 .LBB22_582
; %bb.583:
	v_mov_b32_e32 v1, v2
	s_branch .LBB22_587
.LBB22_584:
	s_mov_b64 s[2:3], -1
                                        ; implicit-def: $vgpr2
                                        ; implicit-def: $vgpr0
	s_branch .LBB22_591
.LBB22_585:
	v_mov_b32_e32 v2, 0
	v_mov_b32_e32 v0, 0
	s_branch .LBB22_590
.LBB22_586:
	v_mov_b32_e32 v0, 0
	s_mov_b32 s71, 0
	s_waitcnt vmcnt(0)
	v_mov_b32_e32 v1, v0
                                        ; implicit-def: $vgpr2
	v_mov_b32_e32 v4, v13
.LBB22_587:
	s_and_b32 s6, s76, 3
	s_cmp_eq_u32 s6, 0
	s_cbranch_scc1 .LBB22_590
; %bb.588:
	s_lshl_b32 s2, s71, 3
	s_add_u32 s2, s34, s2
	s_addc_u32 s3, s35, 0
	s_add_u32 s2, s2, 0xc4
	s_addc_u32 s3, s3, 0
	s_mul_i32 s4, s71, 12
	s_add_u32 s4, s34, s4
	s_addc_u32 s5, s35, 0
.LBB22_589:                             ; =>This Inner Loop Header: Depth=1
	s_load_dwordx2 s[8:9], s[4:5], 0x4
	s_load_dword s7, s[4:5], 0xc
	s_load_dwordx2 s[10:11], s[2:3], 0x0
	v_mov_b32_e32 v2, v1
	s_add_u32 s4, s4, 12
	s_waitcnt lgkmcnt(0)
	v_mul_hi_u32 v1, s9, v4
	v_add_u32_e32 v1, v4, v1
	v_lshrrev_b32_e32 v1, s7, v1
	s_addc_u32 s5, s5, 0
	v_mul_lo_u32 v3, v1, s8
	s_add_u32 s2, s2, 8
	v_sub_u32_e32 v5, v4, v3
	s_addc_u32 s3, s3, 0
	s_add_i32 s6, s6, -1
	v_mov_b32_e32 v4, v1
	v_mad_u64_u32 v[2:3], s[8:9], v5, s11, v[2:3]
	v_mad_u64_u32 v[0:1], s[8:9], v5, s10, v[0:1]
	s_cmp_lg_u32 s6, 0
	v_mov_b32_e32 v1, v2
	s_cbranch_scc1 .LBB22_589
.LBB22_590:
	s_mov_b64 s[2:3], 0
.LBB22_591:
	s_andn2_b64 vcc, exec, s[2:3]
	s_cbranch_vccnz .LBB22_594
; %bb.592:
	s_waitcnt lgkmcnt(0)
	v_mul_hi_u32 v0, s29, v13
	v_add_u32_e32 v0, v13, v0
	s_waitcnt vmcnt(0)
	v_lshrrev_b32_e32 v1, s30, v0
	v_mul_lo_u32 v0, v1, s28
	v_sub_u32_e32 v0, v13, v0
	v_mul_lo_u32 v2, v0, s25
	s_andn2_b64 vcc, exec, s[48:49]
	v_mul_lo_u32 v0, v0, s24
	s_cbranch_vccnz .LBB22_594
; %bb.593:
	v_mul_hi_u32 v3, s46, v1
	v_add_u32_e32 v3, v1, v3
	v_lshrrev_b32_e32 v3, s47, v3
	v_mul_lo_u32 v3, v3, s31
	v_sub_u32_e32 v3, v1, v3
	v_mad_u64_u32 v[0:1], s[2:3], v3, s26, v[0:1]
	v_mad_u64_u32 v[2:3], s[2:3], v3, s27, v[2:3]
.LBB22_594:
	v_mov_b32_e32 v3, 0
	s_and_b32 s10, 0xffff, s74
	s_cmp_lt_i32 s10, 11
	s_waitcnt lgkmcnt(0)
	v_lshl_add_u64 v[2:3], s[22:23], 0, v[2:3]
	s_cbranch_scc1 .LBB22_601
; %bb.595:
	s_cmp_gt_i32 s10, 25
	s_cbranch_scc0 .LBB22_602
; %bb.596:
	s_cmp_gt_i32 s10, 28
	s_cbranch_scc0 .LBB22_603
	;; [unrolled: 3-line block ×4, first 2 shown]
; %bb.599:
	s_cmp_eq_u32 s10, 46
	s_mov_b64 s[4:5], 0
	s_cbranch_scc0 .LBB22_610
; %bb.600:
	global_load_dword v1, v[2:3], off
	s_mov_b64 s[2:3], -1
	s_mov_b64 s[8:9], 0
	s_waitcnt vmcnt(0)
	v_lshlrev_b32_e32 v1, 16, v1
	s_branch .LBB22_611
.LBB22_601:
	s_mov_b64 s[4:5], -1
	s_mov_b64 s[2:3], 0
                                        ; implicit-def: $vgpr1
	s_mov_b64 s[8:9], s[60:61]
	s_branch .LBB22_676
.LBB22_602:
	s_mov_b64 s[4:5], -1
	s_mov_b64 s[2:3], 0
	s_mov_b64 s[8:9], s[60:61]
                                        ; implicit-def: $vgpr1
	s_branch .LBB22_640
.LBB22_603:
	s_mov_b64 s[4:5], -1
	s_mov_b64 s[2:3], 0
	s_mov_b64 s[8:9], s[60:61]
                                        ; implicit-def: $vgpr1
	s_branch .LBB22_621
.LBB22_604:
	s_mov_b64 s[4:5], -1
	s_mov_b64 s[2:3], 0
	s_mov_b64 s[8:9], s[60:61]
                                        ; implicit-def: $vgpr1
	s_branch .LBB22_616
.LBB22_605:
	s_andn2_saveexec_b64 s[10:11], s[10:11]
	s_cbranch_execz .LBB22_373
.LBB22_606:
	s_mov_b32 s14, 0x46000000
	v_add_f32_e64 v3, |v2|, s14
	v_and_b32_e32 v3, 0xff, v3
	v_cmp_ne_u32_e32 vcc, 0, v3
	s_andn2_b64 s[6:7], s[6:7], exec
	s_and_b64 s[14:15], vcc, exec
	s_or_b64 s[6:7], s[6:7], s[14:15]
	s_or_b64 exec, exec, s[10:11]
	v_mov_b32_e32 v4, 0
	s_and_saveexec_b64 s[10:11], s[6:7]
	s_cbranch_execnz .LBB22_374
	s_branch .LBB22_375
.LBB22_607:
	s_mov_b64 s[4:5], -1
	s_mov_b64 s[2:3], 0
	s_mov_b64 s[8:9], s[60:61]
                                        ; implicit-def: $vgpr1
	s_branch .LBB22_611
.LBB22_608:
	s_andn2_saveexec_b64 s[10:11], s[10:11]
	s_cbranch_execz .LBB22_386
.LBB22_609:
	s_mov_b32 s14, 0x42800000
	v_add_f32_e64 v3, |v2|, s14
	v_and_b32_e32 v3, 0xff, v3
	v_cmp_ne_u32_e32 vcc, 0, v3
	s_andn2_b64 s[6:7], s[6:7], exec
	s_and_b64 s[14:15], vcc, exec
	s_or_b64 s[6:7], s[6:7], s[14:15]
	s_or_b64 exec, exec, s[10:11]
	v_mov_b32_e32 v4, 0
	s_and_saveexec_b64 s[10:11], s[6:7]
	s_cbranch_execnz .LBB22_387
	s_branch .LBB22_388
.LBB22_610:
	s_mov_b64 s[8:9], -1
                                        ; implicit-def: $vgpr1
	s_mov_b64 s[2:3], 0
.LBB22_611:
	s_and_b64 vcc, exec, s[4:5]
	s_cbranch_vccz .LBB22_615
; %bb.612:
	s_cmp_eq_u32 s10, 44
	s_cbranch_scc0 .LBB22_614
; %bb.613:
	global_load_ubyte v1, v[2:3], off
	s_movk_i32 s4, 0xff
	v_mov_b32_e32 v4, 0x7f800001
	v_mov_b32_e32 v5, 0x400000
	s_mov_b64 s[2:3], -1
	s_mov_b64 s[8:9], 0
	s_waitcnt vmcnt(0)
	v_lshlrev_b32_e32 v6, 23, v1
	v_cmp_ne_u32_e32 vcc, s4, v1
	s_nop 1
	v_cndmask_b32_e32 v4, v4, v6, vcc
	v_cmp_ne_u32_e32 vcc, 0, v1
	s_nop 1
	v_cndmask_b32_e32 v1, v5, v4, vcc
	s_branch .LBB22_615
.LBB22_614:
	s_mov_b64 s[8:9], -1
                                        ; implicit-def: $vgpr1
.LBB22_615:
	s_mov_b64 s[4:5], 0
.LBB22_616:
	s_and_b64 vcc, exec, s[4:5]
	s_cbranch_vccz .LBB22_620
; %bb.617:
	s_cmp_eq_u32 s10, 29
	s_cbranch_scc0 .LBB22_619
; %bb.618:
	global_load_dwordx2 v[4:5], v[2:3], off
	s_mov_b64 s[2:3], -1
	s_mov_b64 s[8:9], 0
	s_mov_b64 s[4:5], 0
	s_waitcnt vmcnt(0)
	v_ffbh_u32_e32 v1, v5
	v_min_u32_e32 v1, 32, v1
	v_lshlrev_b64 v[4:5], v1, v[4:5]
	v_min_u32_e32 v4, 1, v4
	v_or_b32_e32 v4, v5, v4
	v_cvt_f32_u32_e32 v4, v4
	v_sub_u32_e32 v1, 32, v1
	v_ldexp_f32 v1, v4, v1
	s_branch .LBB22_621
.LBB22_619:
	s_mov_b64 s[8:9], -1
                                        ; implicit-def: $vgpr1
.LBB22_620:
	s_mov_b64 s[4:5], 0
.LBB22_621:
	s_and_b64 vcc, exec, s[4:5]
	s_cbranch_vccz .LBB22_639
; %bb.622:
	s_cmp_lt_i32 s10, 27
	s_cbranch_scc1 .LBB22_625
; %bb.623:
	s_cmp_gt_i32 s10, 27
	s_cbranch_scc0 .LBB22_626
; %bb.624:
	global_load_dword v1, v[2:3], off
	s_mov_b64 s[2:3], 0
	s_waitcnt vmcnt(0)
	v_cvt_f32_u32_e32 v1, v1
	s_branch .LBB22_627
.LBB22_625:
	s_mov_b64 s[2:3], -1
                                        ; implicit-def: $vgpr1
	s_branch .LBB22_630
.LBB22_626:
	s_mov_b64 s[2:3], -1
                                        ; implicit-def: $vgpr1
.LBB22_627:
	s_andn2_b64 vcc, exec, s[2:3]
	s_cbranch_vccnz .LBB22_629
; %bb.628:
	global_load_ushort v1, v[2:3], off
	s_waitcnt vmcnt(0)
	v_cvt_f32_u32_e32 v1, v1
.LBB22_629:
	s_mov_b64 s[2:3], 0
.LBB22_630:
	s_andn2_b64 vcc, exec, s[2:3]
	s_cbranch_vccnz .LBB22_638
; %bb.631:
	global_load_ubyte v4, v[2:3], off
	s_movk_i32 s2, 0x7f
	s_waitcnt vmcnt(0)
	v_cmp_lt_i16_e32 vcc, s2, v4
	s_mov_b64 s[2:3], 0
	s_and_saveexec_b64 s[4:5], vcc
	s_xor_b64 s[4:5], exec, s[4:5]
	s_cbranch_execz .LBB22_652
; %bb.632:
	s_movk_i32 s2, 0x80
	v_cmp_eq_u16_e32 vcc, s2, v4
	s_mov_b64 s[2:3], -1
	s_and_saveexec_b64 s[6:7], vcc
; %bb.633:
	s_xor_b64 s[2:3], exec, -1
; %bb.634:
	s_or_b64 exec, exec, s[6:7]
	s_and_b64 s[2:3], s[2:3], exec
	s_or_saveexec_b64 s[4:5], s[4:5]
	v_mov_b32_e32 v1, 0x7f800001
	s_xor_b64 exec, exec, s[4:5]
	s_cbranch_execnz .LBB22_653
.LBB22_635:
	s_or_b64 exec, exec, s[4:5]
	s_and_saveexec_b64 s[4:5], s[2:3]
	s_cbranch_execz .LBB22_637
.LBB22_636:
	v_lshlrev_b32_e32 v1, 24, v4
	v_and_b32_e32 v4, 0xffff, v4
	v_and_b32_e32 v5, 7, v4
	v_ffbh_u32_e32 v7, v5
	v_min_u32_e32 v7, 32, v7
	v_subrev_u32_e32 v8, 28, v7
	v_bfe_u32 v6, v4, 3, 4
	v_lshlrev_b32_e32 v4, v8, v4
	v_sub_u32_e32 v7, 29, v7
	v_and_b32_e32 v4, 7, v4
	v_cmp_eq_u32_e32 vcc, 0, v6
	v_and_b32_e32 v1, 0x80000000, v1
	s_nop 0
	v_cndmask_b32_e32 v6, v6, v7, vcc
	v_cndmask_b32_e32 v4, v5, v4, vcc
	v_mov_b32_e32 v5, 0x3b800000
	v_lshlrev_b32_e32 v4, 20, v4
	v_lshl_add_u32 v5, v6, 23, v5
	v_or3_b32 v1, v1, v5, v4
.LBB22_637:
	s_or_b64 exec, exec, s[4:5]
.LBB22_638:
	s_mov_b64 s[2:3], -1
.LBB22_639:
	s_mov_b64 s[4:5], 0
.LBB22_640:
	s_and_b64 vcc, exec, s[4:5]
	s_cbranch_vccz .LBB22_675
; %bb.641:
	s_cmp_gt_i32 s10, 22
	s_cbranch_scc0 .LBB22_651
; %bb.642:
	s_cmp_lt_i32 s10, 24
	s_cbranch_scc1 .LBB22_654
; %bb.643:
	s_cmp_gt_i32 s10, 24
	s_cbranch_scc0 .LBB22_655
; %bb.644:
	global_load_ubyte v4, v[2:3], off
	s_movk_i32 s2, 0x7f
	s_waitcnt vmcnt(0)
	v_cmp_lt_i16_e32 vcc, s2, v4
	s_mov_b64 s[2:3], 0
	s_and_saveexec_b64 s[4:5], vcc
	s_xor_b64 s[4:5], exec, s[4:5]
	s_cbranch_execz .LBB22_667
; %bb.645:
	s_movk_i32 s2, 0x80
	v_cmp_eq_u16_e32 vcc, s2, v4
	s_mov_b64 s[2:3], -1
	s_and_saveexec_b64 s[6:7], vcc
; %bb.646:
	s_xor_b64 s[2:3], exec, -1
; %bb.647:
	s_or_b64 exec, exec, s[6:7]
	s_and_b64 s[2:3], s[2:3], exec
	s_or_saveexec_b64 s[4:5], s[4:5]
	v_mov_b32_e32 v1, 0x7f800001
	s_xor_b64 exec, exec, s[4:5]
	s_cbranch_execnz .LBB22_668
.LBB22_648:
	s_or_b64 exec, exec, s[4:5]
	s_and_saveexec_b64 s[4:5], s[2:3]
	s_cbranch_execz .LBB22_650
.LBB22_649:
	v_lshlrev_b32_e32 v1, 24, v4
	v_and_b32_e32 v4, 0xffff, v4
	v_and_b32_e32 v5, 3, v4
	v_ffbh_u32_e32 v7, v5
	v_min_u32_e32 v7, 32, v7
	v_subrev_u32_e32 v8, 29, v7
	v_bfe_u32 v6, v4, 2, 5
	v_lshlrev_b32_e32 v4, v8, v4
	v_sub_u32_e32 v7, 30, v7
	v_and_b32_e32 v4, 3, v4
	v_cmp_eq_u32_e32 vcc, 0, v6
	v_and_b32_e32 v1, 0x80000000, v1
	s_nop 0
	v_cndmask_b32_e32 v6, v6, v7, vcc
	v_cndmask_b32_e32 v4, v5, v4, vcc
	v_mov_b32_e32 v5, 0x37800000
	v_lshlrev_b32_e32 v4, 21, v4
	v_lshl_add_u32 v5, v6, 23, v5
	v_or3_b32 v1, v1, v5, v4
.LBB22_650:
	s_or_b64 exec, exec, s[4:5]
	s_mov_b64 s[2:3], 0
	s_branch .LBB22_656
.LBB22_651:
	s_mov_b64 s[4:5], -1
                                        ; implicit-def: $vgpr1
	s_branch .LBB22_662
.LBB22_652:
	s_or_saveexec_b64 s[4:5], s[4:5]
	v_mov_b32_e32 v1, 0x7f800001
	s_xor_b64 exec, exec, s[4:5]
	s_cbranch_execz .LBB22_635
.LBB22_653:
	v_cmp_ne_u16_e32 vcc, 0, v4
	s_andn2_b64 s[2:3], s[2:3], exec
	s_and_b64 s[6:7], vcc, exec
	v_mov_b32_e32 v1, 0
	s_or_b64 s[2:3], s[2:3], s[6:7]
	s_or_b64 exec, exec, s[4:5]
	s_and_saveexec_b64 s[4:5], s[2:3]
	s_cbranch_execnz .LBB22_636
	s_branch .LBB22_637
.LBB22_654:
	s_mov_b64 s[2:3], -1
                                        ; implicit-def: $vgpr1
	s_branch .LBB22_659
.LBB22_655:
	s_mov_b64 s[2:3], -1
                                        ; implicit-def: $vgpr1
.LBB22_656:
	s_and_b64 vcc, exec, s[2:3]
	s_cbranch_vccz .LBB22_658
; %bb.657:
	global_load_ubyte v1, v[2:3], off
	s_mov_b32 s2, 0x7f800000
	s_waitcnt vmcnt(0)
	v_lshlrev_b32_e32 v1, 24, v1
	v_and_b32_e32 v4, 0x7f000000, v1
	v_ffbh_u32_e32 v5, v4
	v_min_u32_e32 v5, 32, v5
	v_sub_u32_e64 v5, v5, 4 clamp
	v_lshlrev_b32_e32 v7, v5, v4
	v_lshlrev_b32_e32 v5, 23, v5
	v_lshrrev_b32_e32 v7, 4, v7
	v_add_u32_e32 v6, 0x1000000, v4
	v_sub_u32_e32 v5, v7, v5
	v_ashrrev_i32_e32 v6, 8, v6
	v_add_u32_e32 v5, 0x3c000000, v5
	v_and_or_b32 v5, v6, s2, v5
	v_cmp_ne_u32_e32 vcc, 0, v4
	s_brev_b32 s2, 1
	s_nop 0
	v_cndmask_b32_e32 v4, 0, v5, vcc
	v_and_or_b32 v1, v1, s2, v4
.LBB22_658:
	s_mov_b64 s[2:3], 0
.LBB22_659:
	s_andn2_b64 vcc, exec, s[2:3]
	s_cbranch_vccnz .LBB22_661
; %bb.660:
	global_load_ubyte v1, v[2:3], off
	s_movk_i32 s2, 0x7f00
	s_brev_b32 s3, 16
	s_waitcnt vmcnt(0)
	v_lshlrev_b16_e32 v4, 8, v1
	v_lshlrev_b32_e32 v1, 25, v1
	v_lshrrev_b32_e32 v5, 4, v1
	v_and_or_b32 v6, v4, s2, 0.5
	v_or_b32_e32 v5, 0x70000000, v5
	v_add_f32_e32 v6, -0.5, v6
	v_mul_f32_e32 v5, 0x7800000, v5
	v_cmp_gt_u32_e32 vcc, s3, v1
	v_bfe_i32 v4, v4, 0, 16
	s_brev_b32 s2, 1
	v_cndmask_b32_e32 v1, v5, v6, vcc
	v_and_or_b32 v1, v4, s2, v1
.LBB22_661:
	s_mov_b64 s[4:5], 0
	s_mov_b64 s[2:3], -1
.LBB22_662:
	s_andn2_b64 vcc, exec, s[4:5]
	s_cbranch_vccnz .LBB22_675
; %bb.663:
	s_cmp_gt_i32 s10, 14
	s_cbranch_scc0 .LBB22_666
; %bb.664:
	s_cmp_eq_u32 s10, 15
	s_cbranch_scc0 .LBB22_669
; %bb.665:
	global_load_ushort v1, v[2:3], off
	s_mov_b64 s[2:3], -1
	s_mov_b64 s[8:9], 0
	s_waitcnt vmcnt(0)
	v_lshlrev_b32_e32 v1, 16, v1
	s_branch .LBB22_670
.LBB22_666:
	s_mov_b64 s[4:5], -1
                                        ; implicit-def: $vgpr1
	s_branch .LBB22_671
.LBB22_667:
	s_or_saveexec_b64 s[4:5], s[4:5]
	v_mov_b32_e32 v1, 0x7f800001
	s_xor_b64 exec, exec, s[4:5]
	s_cbranch_execz .LBB22_648
.LBB22_668:
	v_cmp_ne_u16_e32 vcc, 0, v4
	s_andn2_b64 s[2:3], s[2:3], exec
	s_and_b64 s[6:7], vcc, exec
	v_mov_b32_e32 v1, 0
	s_or_b64 s[2:3], s[2:3], s[6:7]
	s_or_b64 exec, exec, s[4:5]
	s_and_saveexec_b64 s[4:5], s[2:3]
	s_cbranch_execnz .LBB22_649
	s_branch .LBB22_650
.LBB22_669:
	s_mov_b64 s[8:9], -1
                                        ; implicit-def: $vgpr1
.LBB22_670:
	s_mov_b64 s[4:5], 0
.LBB22_671:
	s_and_b64 vcc, exec, s[4:5]
	s_cbranch_vccz .LBB22_675
; %bb.672:
	s_cmp_eq_u32 s10, 11
	s_cbranch_scc0 .LBB22_674
; %bb.673:
	global_load_ubyte v1, v[2:3], off
	s_mov_b64 s[2:3], -1
	s_mov_b64 s[8:9], 0
	s_waitcnt vmcnt(0)
	v_cmp_ne_u16_e32 vcc, 0, v1
	s_nop 1
	v_cndmask_b32_e64 v1, 0, 1.0, vcc
	s_branch .LBB22_675
.LBB22_674:
	s_mov_b64 s[8:9], -1
                                        ; implicit-def: $vgpr1
.LBB22_675:
	s_mov_b64 s[4:5], 0
.LBB22_676:
	s_and_b64 vcc, exec, s[4:5]
	s_cbranch_vccz .LBB22_725
; %bb.677:
	s_cmp_lt_i32 s10, 5
	s_cbranch_scc1 .LBB22_682
; %bb.678:
	s_cmp_lt_i32 s10, 8
	s_cbranch_scc1 .LBB22_683
; %bb.679:
	s_cmp_lt_i32 s10, 9
	s_cbranch_scc1 .LBB22_684
; %bb.680:
	s_cmp_gt_i32 s10, 9
	s_cbranch_scc0 .LBB22_685
; %bb.681:
	global_load_dwordx2 v[4:5], v[2:3], off
	s_mov_b64 s[2:3], 0
	s_waitcnt vmcnt(0)
	v_cvt_f32_f64_e32 v1, v[4:5]
	s_branch .LBB22_686
.LBB22_682:
	s_mov_b64 s[2:3], -1
                                        ; implicit-def: $vgpr1
	s_branch .LBB22_704
.LBB22_683:
	s_mov_b64 s[2:3], -1
                                        ; implicit-def: $vgpr1
	s_branch .LBB22_692
.LBB22_684:
	s_mov_b64 s[2:3], -1
                                        ; implicit-def: $vgpr1
	s_branch .LBB22_689
.LBB22_685:
	s_mov_b64 s[2:3], -1
                                        ; implicit-def: $vgpr1
.LBB22_686:
	s_andn2_b64 vcc, exec, s[2:3]
	s_cbranch_vccnz .LBB22_688
; %bb.687:
	global_load_dword v1, v[2:3], off
.LBB22_688:
	s_mov_b64 s[2:3], 0
.LBB22_689:
	s_andn2_b64 vcc, exec, s[2:3]
	s_cbranch_vccnz .LBB22_691
; %bb.690:
	global_load_dword v1, v[2:3], off
	s_waitcnt vmcnt(0)
	v_cvt_f32_f16_e32 v1, v1
.LBB22_691:
	s_mov_b64 s[2:3], 0
.LBB22_692:
	s_andn2_b64 vcc, exec, s[2:3]
	s_cbranch_vccnz .LBB22_703
; %bb.693:
	s_cmp_lt_i32 s10, 6
	s_cbranch_scc1 .LBB22_696
; %bb.694:
	s_cmp_gt_i32 s10, 6
	s_cbranch_scc0 .LBB22_697
; %bb.695:
	global_load_dwordx2 v[4:5], v[2:3], off
	s_mov_b64 s[2:3], 0
	s_waitcnt vmcnt(0)
	v_cvt_f32_f64_e32 v1, v[4:5]
	s_branch .LBB22_698
.LBB22_696:
	s_mov_b64 s[2:3], -1
                                        ; implicit-def: $vgpr1
	s_branch .LBB22_701
.LBB22_697:
	s_mov_b64 s[2:3], -1
                                        ; implicit-def: $vgpr1
.LBB22_698:
	s_andn2_b64 vcc, exec, s[2:3]
	s_cbranch_vccnz .LBB22_700
; %bb.699:
	global_load_dword v1, v[2:3], off
.LBB22_700:
	s_mov_b64 s[2:3], 0
.LBB22_701:
	s_andn2_b64 vcc, exec, s[2:3]
	s_cbranch_vccnz .LBB22_703
; %bb.702:
	global_load_ushort v1, v[2:3], off
	s_waitcnt vmcnt(0)
	v_cvt_f32_f16_e32 v1, v1
.LBB22_703:
	s_mov_b64 s[2:3], 0
.LBB22_704:
	s_andn2_b64 vcc, exec, s[2:3]
	s_cbranch_vccnz .LBB22_724
; %bb.705:
	s_cmp_lt_i32 s10, 2
	s_cbranch_scc1 .LBB22_709
; %bb.706:
	s_cmp_lt_i32 s10, 3
	s_cbranch_scc1 .LBB22_710
; %bb.707:
	s_cmp_gt_i32 s10, 3
	s_cbranch_scc0 .LBB22_711
; %bb.708:
	global_load_dwordx2 v[4:5], v[2:3], off
	s_mov_b64 s[2:3], 0
	s_waitcnt vmcnt(0)
	v_xor_b32_e32 v6, v4, v5
	v_ffbh_i32_e32 v1, v5
	v_ashrrev_i32_e32 v6, 31, v6
	v_add_u32_e32 v1, -1, v1
	v_add_u32_e32 v6, 32, v6
	v_min_u32_e32 v1, v1, v6
	v_lshlrev_b64 v[4:5], v1, v[4:5]
	v_min_u32_e32 v4, 1, v4
	v_or_b32_e32 v4, v5, v4
	v_cvt_f32_i32_e32 v4, v4
	v_sub_u32_e32 v1, 32, v1
	v_ldexp_f32 v1, v4, v1
	s_branch .LBB22_712
.LBB22_709:
	s_mov_b64 s[2:3], -1
                                        ; implicit-def: $vgpr1
	s_branch .LBB22_718
.LBB22_710:
	s_mov_b64 s[2:3], -1
                                        ; implicit-def: $vgpr1
	s_branch .LBB22_715
.LBB22_711:
	s_mov_b64 s[2:3], -1
                                        ; implicit-def: $vgpr1
.LBB22_712:
	s_andn2_b64 vcc, exec, s[2:3]
	s_cbranch_vccnz .LBB22_714
; %bb.713:
	global_load_dword v1, v[2:3], off
	s_waitcnt vmcnt(0)
	v_cvt_f32_i32_e32 v1, v1
.LBB22_714:
	s_mov_b64 s[2:3], 0
.LBB22_715:
	s_andn2_b64 vcc, exec, s[2:3]
	s_cbranch_vccnz .LBB22_717
; %bb.716:
	global_load_sshort v1, v[2:3], off
	s_waitcnt vmcnt(0)
	v_cvt_f32_i32_e32 v1, v1
.LBB22_717:
	s_mov_b64 s[2:3], 0
.LBB22_718:
	s_andn2_b64 vcc, exec, s[2:3]
	s_cbranch_vccnz .LBB22_724
; %bb.719:
	s_cmp_gt_i32 s10, 0
	s_cbranch_scc0 .LBB22_721
; %bb.720:
	global_load_sbyte v1, v[2:3], off
	s_mov_b64 s[2:3], 0
	s_waitcnt vmcnt(0)
	v_cvt_f32_i32_e32 v1, v1
	s_branch .LBB22_722
.LBB22_721:
	s_mov_b64 s[2:3], -1
                                        ; implicit-def: $vgpr1
.LBB22_722:
	s_andn2_b64 vcc, exec, s[2:3]
	s_cbranch_vccnz .LBB22_724
; %bb.723:
	global_load_ubyte v1, v[2:3], off
	s_waitcnt vmcnt(0)
	v_cvt_f32_ubyte0_e32 v1, v1
.LBB22_724:
	s_mov_b64 s[2:3], -1
.LBB22_725:
	s_andn2_b64 vcc, exec, s[2:3]
	s_cbranch_vccnz .LBB22_735
; %bb.726:
	s_mov_b32 s2, 0x40a00000
	s_waitcnt vmcnt(0)
	v_cmp_ge_f32_e32 vcc, s2, v1
                                        ; implicit-def: $vgpr2
	s_and_saveexec_b64 s[2:3], vcc
	s_xor_b64 s[4:5], exec, s[2:3]
	s_cbranch_execz .LBB22_732
; %bb.727:
	v_cmp_neq_f32_e32 vcc, 0, v1
	v_mov_b32_e32 v2, 0xff800000
	s_and_saveexec_b64 s[6:7], vcc
	s_cbranch_execz .LBB22_731
; %bb.728:
	v_cmp_nge_f32_e32 vcc, 0, v1
	v_mov_b32_e32 v2, 0x7fc00000
	s_and_saveexec_b64 s[10:11], vcc
	s_cbranch_execz .LBB22_730
; %bb.729:
	v_mul_f32_e32 v2, v1, v1
	v_mov_b32_e32 v3, 0x4414934d
	v_fmac_f32_e32 v3, 0, v2
	v_fmaak_f32 v3, v2, v3, 0x48660b06
	s_mov_b32 s2, 0x4e9695f3
	v_mul_f32_e32 v4, 0, v2
	v_mul_f32_e32 v5, v2, v3
	s_mov_b32 s3, 0x4c8c277d
	v_pk_add_f32 v[6:7], v[4:5], s[2:3]
	s_mov_b32 s2, 0xd316b96b
	s_mov_b32 s3, 0x508bc61d
	v_pk_fma_f32 v[6:7], v[2:3], v[6:7], s[2:3] op_sel_hi:[0,1,1]
	s_mov_b32 s2, 0x56d04aa6
	s_mov_b32 s3, 0x5461faf8
	v_pk_fma_f32 v[6:7], v[2:3], v[6:7], s[2:3] op_sel_hi:[0,1,1]
	;; [unrolled: 3-line block ×5, first 2 shown]
	v_div_scale_f32 v3, s[2:3], v7, v7, v6
	v_rcp_f32_e32 v8, v3
	s_mov_b32 s2, 0xce5691e2
	s_mov_b32 s3, 0x548a37dc
	v_fma_f32 v5, -v3, v8, 1.0
	v_fmac_f32_e32 v8, v5, v8
	v_div_scale_f32 v5, vcc, v6, v7, v6
	v_mul_f32_e32 v9, v5, v8
	v_fma_f32 v10, -v3, v9, v5
	v_fmac_f32_e32 v9, v10, v8
	v_fma_f32 v3, -v3, v9, v5
	v_mov_b32_e32 v5, 0x441b3589
	v_fmac_f32_e32 v5, 0, v2
	v_fmaak_f32 v5, v2, v5, 0x487af6d0
	v_fmaak_f32 v5, v2, v5, 0x4c9f4aa7
	v_fmaak_f32 v5, v2, v5, 0x50a509fc
	v_mul_f32_e32 v5, v2, v5
	v_pk_add_f32 v[4:5], v[4:5], s[2:3]
	s_mov_b32 s2, 0x52d295d0
	s_mov_b32 s3, 0x58325852
	v_pk_fma_f32 v[4:5], v[2:3], v[4:5], s[2:3] op_sel_hi:[0,1,1]
	s_mov_b32 s2, 0xd6845497
	s_mov_b32 s3, 0x5b9f0600
	v_pk_fma_f32 v[4:5], v[2:3], v[4:5], s[2:3] op_sel_hi:[0,1,1]
	;; [unrolled: 3-line block ×3, first 2 shown]
	v_div_scale_f32 v10, s[2:3], v5, v5, v4
	v_rcp_f32_e32 v11, v10
	v_div_fmas_f32 v3, v3, v8, v9
	v_div_fixup_f32 v6, v3, v7, v6
	s_mov_b32 s2, 0xc244dfb3
	v_fma_f32 v3, -v10, v11, 1.0
	v_fmac_f32_e32 v11, v3, v11
	v_div_scale_f32 v3, vcc, v4, v5, v4
	v_mul_f32_e32 v7, v3, v11
	v_fma_f32 v8, -v10, v7, v3
	v_fmac_f32_e32 v7, v8, v11
	v_fma_f32 v3, -v10, v7, v3
	v_div_fmas_f32 v3, v3, v11, v7
	v_div_fixup_f32 v3, v3, v5, v4
	s_mov_b32 s3, 0xc16ae95a
	v_mul_f32_e32 v4, v1, v3
	v_pk_add_f32 v[2:3], v[2:3], s[2:3] op_sel_hi:[0,1]
	s_mov_b32 s2, 0x800000
	v_cmp_gt_f32_e32 vcc, s2, v1
	v_mul_f32_e32 v3, v3, v4
	v_mul_f32_e32 v2, v2, v3
	v_cndmask_b32_e64 v5, 0, 32, vcc
	v_ldexp_f32 v5, v1, v5
	v_log_f32_e32 v5, v5
	s_mov_b32 s2, 0x3f317217
	v_mov_b32_e32 v7, 0x41b17218
	v_cndmask_b32_e32 v7, 0, v7, vcc
	v_mul_f32_e32 v3, 0x3f317217, v5
	v_fma_f32 v3, v5, s2, -v3
	v_fmamk_f32 v3, v5, 0x3377d1cf, v3
	s_mov_b32 s2, 0x7f800000
	v_fmac_f32_e32 v3, 0x3f317217, v5
	v_cmp_lt_f32_e64 s[2:3], |v5|, s2
	s_nop 1
	v_cndmask_b32_e64 v3, v5, v3, s[2:3]
	v_div_scale_f32 v4, s[2:3], v1, v1, -1.0
	v_rcp_f32_e32 v5, v4
	v_sub_f32_e32 v3, v3, v7
	v_fma_f32 v7, -v4, v5, 1.0
	v_fmac_f32_e32 v5, v7, v5
	v_div_scale_f32 v7, vcc, -1.0, v1, -1.0
	v_mul_f32_e32 v8, v7, v5
	v_fma_f32 v9, -v4, v8, v7
	v_fmac_f32_e32 v8, v9, v5
	v_fma_f32 v4, -v4, v8, v7
	v_div_fmas_f32 v4, v4, v5, v8
	v_div_fixup_f32 v4, v4, v1, -1.0
	v_fmac_f32_e32 v4, v3, v2
	v_mul_f32_e32 v2, 0x3f22f983, v4
	v_fmac_f32_e32 v2, v1, v6
.LBB22_730:
	s_or_b64 exec, exec, s[10:11]
.LBB22_731:
	s_or_b64 exec, exec, s[6:7]
                                        ; implicit-def: $vgpr1
.LBB22_732:
	s_andn2_saveexec_b64 s[10:11], s[4:5]
	s_cbranch_execz .LBB22_743
; %bb.733:
	v_add_f32_e32 v2, 0xc016cbe4, v1
	s_brev_b32 s2, 18
	v_and_b32_e32 v3, 0x7fffffff, v2
	v_cmp_nlt_f32_e64 s[12:13], |v2|, s2
                                        ; implicit-def: $vgpr4
                                        ; implicit-def: $vgpr5
	s_and_saveexec_b64 s[2:3], s[12:13]
	s_xor_b64 s[14:15], exec, s[2:3]
	s_cbranch_execz .LBB22_736
; %bb.734:
	v_lshrrev_b32_e32 v4, 23, v3
	v_add_u32_e32 v4, 0xffffff88, v4
	v_not_b32_e32 v5, 63
	v_cmp_lt_u32_e32 vcc, 63, v4
	s_mov_b32 s6, 0xfe5163ab
	v_mov_b32_e32 v7, 0
	v_cndmask_b32_e32 v5, 0, v5, vcc
	v_add_u32_e32 v4, v5, v4
	v_not_b32_e32 v5, 31
	v_cmp_lt_u32_e64 s[2:3], 31, v4
	s_nop 1
	v_cndmask_b32_e64 v6, 0, v5, s[2:3]
	v_add_u32_e32 v4, v6, v4
	v_cmp_lt_u32_e64 s[4:5], 31, v4
	s_nop 1
	v_cndmask_b32_e64 v5, 0, v5, s[4:5]
	v_add_u32_e32 v12, v5, v4
	v_and_b32_e32 v4, 0x7fffff, v3
	v_or_b32_e32 v20, 0x800000, v4
	v_mad_u64_u32 v[4:5], s[6:7], v20, s6, 0
	v_mov_b32_e32 v6, v5
	s_mov_b32 s6, 0x3c439041
	v_mad_u64_u32 v[8:9], s[6:7], v20, s6, v[6:7]
	v_mov_b32_e32 v6, v9
	s_mov_b32 s6, 0xdb629599
	;; [unrolled: 3-line block ×6, first 2 shown]
	v_mad_u64_u32 v[6:7], s[6:7], v20, s6, v[6:7]
	v_cndmask_b32_e32 v5, v18, v14, vcc
	v_cndmask_b32_e32 v6, v6, v16, vcc
	;; [unrolled: 1-line block ×3, first 2 shown]
	v_cndmask_b32_e64 v9, v6, v5, s[2:3]
	v_cndmask_b32_e64 v6, v7, v6, s[2:3]
	v_cndmask_b32_e32 v7, v16, v10, vcc
	v_cndmask_b32_e64 v5, v5, v7, s[2:3]
	v_cndmask_b32_e32 v8, v14, v8, vcc
	v_cndmask_b32_e64 v6, v6, v9, s[4:5]
	v_cndmask_b32_e64 v9, v9, v5, s[4:5]
	v_sub_u32_e32 v11, 32, v12
	v_cndmask_b32_e64 v7, v7, v8, s[2:3]
	v_alignbit_b32 v15, v6, v9, v11
	v_cmp_eq_u32_e64 s[6:7], 0, v12
	v_cndmask_b32_e64 v5, v5, v7, s[4:5]
	v_alignbit_b32 v12, v9, v5, v11
	v_cndmask_b32_e64 v6, v15, v6, s[6:7]
	v_cndmask_b32_e32 v4, v10, v4, vcc
	v_cndmask_b32_e64 v9, v12, v9, s[6:7]
	v_bfe_u32 v15, v6, 29, 1
	v_cndmask_b32_e64 v4, v8, v4, s[2:3]
	v_alignbit_b32 v12, v6, v9, 30
	v_sub_u32_e32 v16, 0, v15
	v_cndmask_b32_e64 v4, v7, v4, s[4:5]
	v_xor_b32_e32 v12, v12, v16
	v_alignbit_b32 v7, v5, v4, v11
	v_cndmask_b32_e64 v5, v7, v5, s[6:7]
	v_ffbh_u32_e32 v8, v12
	v_alignbit_b32 v7, v9, v5, 30
	v_min_u32_e32 v8, 32, v8
	v_alignbit_b32 v4, v5, v4, 30
	v_xor_b32_e32 v7, v7, v16
	v_sub_u32_e32 v9, 31, v8
	v_xor_b32_e32 v4, v4, v16
	v_alignbit_b32 v10, v12, v7, v9
	v_alignbit_b32 v4, v7, v4, v9
	;; [unrolled: 1-line block ×3, first 2 shown]
	v_ffbh_u32_e32 v7, v5
	v_min_u32_e32 v7, 32, v7
	v_lshrrev_b32_e32 v14, 29, v6
	v_not_b32_e32 v9, v7
	v_alignbit_b32 v4, v5, v4, v9
	v_lshlrev_b32_e32 v5, 31, v14
	v_or_b32_e32 v9, 0x33000000, v5
	v_add_lshl_u32 v7, v7, v8, 23
	v_lshrrev_b32_e32 v4, 9, v4
	v_sub_u32_e32 v7, v9, v7
	v_or_b32_e32 v5, 0.5, v5
	v_lshlrev_b32_e32 v8, 23, v8
	v_or_b32_e32 v4, v7, v4
	v_lshrrev_b32_e32 v7, 9, v10
	v_sub_u32_e32 v5, v5, v8
	v_or_b32_e32 v5, v7, v5
	s_mov_b32 s2, 0x3fc90fda
	v_mul_f32_e32 v7, 0x3fc90fda, v5
	v_fma_f32 v8, v5, s2, -v7
	v_fmamk_f32 v5, v5, 0x33a22168, v8
	v_fmac_f32_e32 v5, 0x3fc90fda, v4
	v_lshrrev_b32_e32 v4, 30, v6
	v_add_f32_e32 v5, v7, v5
	v_add_u32_e32 v4, v15, v4
	s_andn2_saveexec_b64 s[2:3], s[14:15]
	s_cbranch_execz .LBB22_738
	s_branch .LBB22_737
.LBB22_735:
	s_mov_b64 s[4:5], 0
	s_mov_b64 s[2:3], s[62:63]
	s_branch .LBB22_866
.LBB22_736:
	s_andn2_saveexec_b64 s[2:3], s[14:15]
	s_cbranch_execz .LBB22_738
.LBB22_737:
	s_mov_b32 s4, 0x3f22f983
	v_mul_f32_e64 v4, |v2|, s4
	v_rndne_f32_e32 v5, v4
	s_mov_b32 s4, 0xbfc90fda
	v_cvt_i32_f32_e32 v4, v5
	v_fma_f32 v6, v5, s4, |v2|
	v_fmamk_f32 v6, v5, 0xb3a22168, v6
	v_fmamk_f32 v5, v5, 0xa7c234c4, v6
.LBB22_738:
	s_or_b64 exec, exec, s[2:3]
                                        ; implicit-def: $vgpr6
                                        ; implicit-def: $vgpr7
	s_and_saveexec_b64 s[2:3], s[12:13]
	s_xor_b64 s[12:13], exec, s[2:3]
	s_cbranch_execz .LBB22_740
; %bb.739:
	v_lshrrev_b32_e32 v6, 23, v3
	v_add_u32_e32 v6, 0xffffff88, v6
	v_not_b32_e32 v7, 63
	v_cmp_lt_u32_e32 vcc, 63, v6
	s_mov_b32 s6, 0xfe5163ab
	v_mov_b32_e32 v9, 0
	v_cndmask_b32_e32 v7, 0, v7, vcc
	v_add_u32_e32 v6, v7, v6
	v_not_b32_e32 v7, 31
	v_cmp_lt_u32_e64 s[2:3], 31, v6
	s_nop 1
	v_cndmask_b32_e64 v8, 0, v7, s[2:3]
	v_add_u32_e32 v6, v8, v6
	v_cmp_lt_u32_e64 s[4:5], 31, v6
	s_nop 1
	v_cndmask_b32_e64 v7, 0, v7, s[4:5]
	v_add_u32_e32 v12, v7, v6
	v_and_b32_e32 v6, 0x7fffff, v3
	v_or_b32_e32 v22, 0x800000, v6
	v_mad_u64_u32 v[6:7], s[6:7], v22, s6, 0
	v_mov_b32_e32 v8, v7
	s_mov_b32 s6, 0x3c439041
	v_mad_u64_u32 v[10:11], s[6:7], v22, s6, v[8:9]
	v_mov_b32_e32 v8, v11
	s_mov_b32 s6, 0xdb629599
	;; [unrolled: 3-line block ×6, first 2 shown]
	v_mad_u64_u32 v[8:9], s[6:7], v22, s6, v[8:9]
	v_cndmask_b32_e32 v7, v20, v16, vcc
	v_cndmask_b32_e32 v8, v8, v18, vcc
	;; [unrolled: 1-line block ×3, first 2 shown]
	v_cndmask_b32_e64 v11, v8, v7, s[2:3]
	v_cndmask_b32_e64 v8, v9, v8, s[2:3]
	v_cndmask_b32_e32 v9, v18, v14, vcc
	v_cndmask_b32_e64 v7, v7, v9, s[2:3]
	v_cndmask_b32_e32 v10, v16, v10, vcc
	v_cndmask_b32_e64 v8, v8, v11, s[4:5]
	v_cndmask_b32_e64 v11, v11, v7, s[4:5]
	v_sub_u32_e32 v15, 32, v12
	v_cndmask_b32_e64 v9, v9, v10, s[2:3]
	v_alignbit_b32 v17, v8, v11, v15
	v_cmp_eq_u32_e64 s[6:7], 0, v12
	v_cndmask_b32_e64 v7, v7, v9, s[4:5]
	v_alignbit_b32 v12, v11, v7, v15
	v_cndmask_b32_e64 v8, v17, v8, s[6:7]
	v_cndmask_b32_e32 v6, v14, v6, vcc
	v_cndmask_b32_e64 v11, v12, v11, s[6:7]
	v_bfe_u32 v17, v8, 29, 1
	v_cndmask_b32_e64 v6, v10, v6, s[2:3]
	v_alignbit_b32 v12, v8, v11, 30
	v_sub_u32_e32 v18, 0, v17
	v_cndmask_b32_e64 v6, v9, v6, s[4:5]
	v_xor_b32_e32 v12, v12, v18
	v_alignbit_b32 v9, v7, v6, v15
	v_cndmask_b32_e64 v7, v9, v7, s[6:7]
	v_ffbh_u32_e32 v10, v12
	v_alignbit_b32 v9, v11, v7, 30
	v_min_u32_e32 v10, 32, v10
	v_alignbit_b32 v6, v7, v6, 30
	v_xor_b32_e32 v9, v9, v18
	v_sub_u32_e32 v11, 31, v10
	v_xor_b32_e32 v6, v6, v18
	v_alignbit_b32 v12, v12, v9, v11
	v_alignbit_b32 v6, v9, v6, v11
	;; [unrolled: 1-line block ×3, first 2 shown]
	v_ffbh_u32_e32 v9, v7
	v_min_u32_e32 v9, 32, v9
	v_lshrrev_b32_e32 v16, 29, v8
	v_not_b32_e32 v11, v9
	v_alignbit_b32 v6, v7, v6, v11
	v_lshlrev_b32_e32 v7, 31, v16
	v_or_b32_e32 v11, 0x33000000, v7
	v_add_lshl_u32 v9, v9, v10, 23
	v_lshrrev_b32_e32 v6, 9, v6
	v_sub_u32_e32 v9, v11, v9
	v_or_b32_e32 v7, 0.5, v7
	v_lshlrev_b32_e32 v10, 23, v10
	v_or_b32_e32 v6, v9, v6
	v_lshrrev_b32_e32 v9, 9, v12
	v_sub_u32_e32 v7, v7, v10
	v_or_b32_e32 v7, v9, v7
	s_mov_b32 s2, 0x3fc90fda
	v_mul_f32_e32 v9, 0x3fc90fda, v7
	v_fma_f32 v10, v7, s2, -v9
	v_fmamk_f32 v7, v7, 0x33a22168, v10
	v_fmac_f32_e32 v7, 0x3fc90fda, v6
	v_lshrrev_b32_e32 v6, 30, v8
	v_add_f32_e32 v7, v9, v7
	v_add_u32_e32 v6, v17, v6
	s_andn2_saveexec_b64 s[2:3], s[12:13]
	s_cbranch_execnz .LBB22_741
	s_branch .LBB22_742
.LBB22_740:
	s_andn2_saveexec_b64 s[2:3], s[12:13]
	s_cbranch_execz .LBB22_742
.LBB22_741:
	s_mov_b32 s4, 0x3f22f983
	v_mul_f32_e64 v6, |v2|, s4
	v_rndne_f32_e32 v7, v6
	s_mov_b32 s4, 0xbfc90fda
	v_cvt_i32_f32_e32 v6, v7
	v_fma_f32 v8, v7, s4, |v2|
	v_fmamk_f32 v8, v7, 0xb3a22168, v8
	v_fmamk_f32 v7, v7, 0xa7c234c4, v8
.LBB22_742:
	s_or_b64 exec, exec, s[2:3]
	s_mov_b32 s4, 0x40a00000
	v_div_scale_f32 v8, s[2:3], v1, v1, s4
	v_rcp_f32_e32 v9, v8
	v_div_scale_f32 v10, vcc, s4, v1, s4
	v_mov_b32_e32 v14, 0x42947983
	v_fma_f32 v11, -v8, v9, 1.0
	v_fmac_f32_e32 v9, v11, v9
	v_mul_f32_e32 v11, v10, v9
	v_fma_f32 v12, -v8, v11, v10
	v_fmac_f32_e32 v11, v12, v9
	v_fma_f32 v8, -v8, v11, v10
	v_div_fmas_f32 v8, v8, v9, v11
	v_div_fixup_f32 v8, v8, v1, s4
	v_mul_f32_e32 v9, v8, v8
	v_mov_b32_e32 v10, 0x3a47c962
	v_mov_b32_e32 v11, 0x3a15c4d9
	v_fmac_f32_e32 v10, 0, v9
	v_fmac_f32_e32 v11, 0, v9
	v_fmaak_f32 v10, v9, v10, 0x3d95ca45
	v_fmaak_f32 v11, v9, v11, 0x3d8cfeeb
	;; [unrolled: 1-line block ×8, first 2 shown]
	v_mov_b32_e32 v12, 0x3d513fd3
	v_fmaak_f32 v10, v9, v10, 0x40a6dd51
	v_fmaak_f32 v11, v9, v11, 0x40a6b6ea
	v_fmac_f32_e32 v12, 0, v9
	v_fma_f32 v11, v9, v11, 1.0
	v_fmaak_f32 v12, v9, v12, 0x409f6dae
	v_fmac_f32_e32 v14, 0, v9
	v_fma_f32 v10, v9, v10, 1.0
	v_fmaak_f32 v12, v9, v12, 0x4297a5cd
	v_fmaak_f32 v14, v9, v14, 0x44840e5d
	v_div_scale_f32 v15, s[2:3], v11, v11, v10
	v_fmaak_f32 v12, v9, v12, 0x43b763ca
	v_fmaak_f32 v14, v9, v14, 0x459bd349
	v_rcp_f32_e32 v16, v15
	v_fmaak_f32 v12, v9, v12, 0x4431b6ce
	v_fmaak_f32 v14, v9, v14, 0x46156947
	;; [unrolled: 1-line block ×8, first 2 shown]
	v_fma_f32 v14, -v15, v16, 1.0
	v_fmac_f32_e32 v16, v14, v16
	v_div_scale_f32 v14, vcc, v10, v11, v10
	v_mul_f32_e32 v17, v14, v16
	v_fma_f32 v18, -v15, v17, v14
	v_fmac_f32_e32 v17, v18, v16
	v_fma_f32 v14, -v15, v17, v14
	v_div_fmas_f32 v14, v14, v16, v17
	v_div_fixup_f32 v10, v14, v11, v10
	v_mul_f32_e32 v11, v5, v5
	v_mov_b32_e32 v14, 0x3c0881c4
	v_fmamk_f32 v15, v11, 0xb94c1982, v14
	v_fmaak_f32 v15, v11, v15, 0xbe2aaa9d
	v_mul_f32_e32 v15, v11, v15
	v_fmac_f32_e32 v5, v5, v15
	v_mov_b32_e32 v15, 0xbab64f3b
	v_fmamk_f32 v17, v11, 0x37d75334, v15
	v_fmaak_f32 v17, v11, v17, 0x3d2aabf7
	v_fmaak_f32 v17, v11, v17, 0xbf000004
	v_fma_f32 v11, v11, v17, 1.0
	v_and_b32_e32 v17, 1, v4
	v_lshlrev_b32_e32 v4, 30, v4
	v_cmp_eq_u32_e32 vcc, 0, v17
	v_and_b32_e32 v4, 0x80000000, v4
	v_xor_b32_e32 v3, v3, v2
	v_cndmask_b32_e32 v5, v11, v5, vcc
	v_xor_b32_e32 v3, v3, v4
	v_div_scale_f32 v4, s[2:3], v9, v9, v12
	v_xor_b32_e32 v3, v3, v5
	v_rcp_f32_e32 v5, v4
	s_movk_i32 s5, 0x1f8
	v_mov_b32_e32 v11, 0x7fc00000
	v_cmp_class_f32_e64 s[2:3], v2, s5
	v_mov_b32_e32 v16, 0xbe2aaa9d
	v_mov_b32_e32 v18, 0x3d2aabf7
	v_cndmask_b32_e64 v2, v11, v3, s[2:3]
	v_fma_f32 v3, -v4, v5, 1.0
	v_fmac_f32_e32 v5, v3, v5
	v_div_scale_f32 v3, vcc, v12, v9, v12
	v_mul_f32_e32 v17, v3, v5
	v_fma_f32 v20, -v4, v17, v3
	v_fmac_f32_e32 v17, v20, v5
	v_fma_f32 v3, -v4, v17, v3
	v_mul_f32_e32 v4, v7, v7
	v_fmac_f32_e32 v14, 0xb94c1982, v4
	v_fmac_f32_e32 v16, v4, v14
	;; [unrolled: 1-line block ×3, first 2 shown]
	v_mov_b32_e32 v19, 0xbf000004
	v_div_fmas_f32 v3, v3, v5, v17
	v_mul_f32_e32 v5, v4, v16
	v_fmac_f32_e32 v18, v4, v15
	v_fmac_f32_e32 v7, v7, v5
	;; [unrolled: 1-line block ×3, first 2 shown]
	v_and_b32_e32 v5, 1, v6
	v_fma_f32 v4, v4, v19, 1.0
	v_cmp_eq_u32_e32 vcc, 0, v5
	s_brev_b32 s4, 1
	v_lshlrev_b32_e32 v5, 30, v6
	v_cndmask_b32_e64 v4, -v7, v4, vcc
	v_bitop3_b32 v4, v5, v4, s4 bitop3:0x6c
	v_cndmask_b32_e64 v4, v11, v4, s[2:3]
	s_mov_b32 s2, 0xf800000
	v_mul_f32_e32 v5, 0x4f800000, v1
	v_cmp_gt_f32_e32 vcc, s2, v1
	v_div_fixup_f32 v3, v3, v9, v12
	v_mul_f32_e32 v3, v8, v3
	v_cndmask_b32_e32 v1, v1, v5, vcc
	v_sqrt_f32_e32 v5, v1
	v_mul_f32_e32 v3, v3, v4
	v_fmac_f32_e32 v3, v10, v2
	v_mul_f32_e32 v2, 0x3f4c422a, v3
	v_add_u32_e32 v3, -1, v5
	v_fma_f32 v4, -v3, v5, v1
	v_cmp_ge_f32_e64 s[2:3], 0, v4
	v_add_u32_e32 v4, 1, v5
	s_nop 0
	v_cndmask_b32_e64 v3, v5, v3, s[2:3]
	v_fma_f32 v5, -v4, v5, v1
	v_cmp_lt_f32_e64 s[2:3], 0, v5
	s_nop 1
	v_cndmask_b32_e64 v3, v3, v4, s[2:3]
	v_mul_f32_e32 v4, 0x37800000, v3
	v_cndmask_b32_e32 v3, v3, v4, vcc
	v_mov_b32_e32 v4, 0x260
	v_cmp_class_f32_e32 vcc, v1, v4
	s_nop 1
	v_cndmask_b32_e32 v1, v3, v1, vcc
	v_div_scale_f32 v3, s[2:3], v1, v1, v2
	v_rcp_f32_e32 v4, v3
	s_nop 0
	v_fma_f32 v5, -v3, v4, 1.0
	v_fmac_f32_e32 v4, v5, v4
	v_div_scale_f32 v5, vcc, v2, v1, v2
	v_mul_f32_e32 v6, v5, v4
	v_fma_f32 v7, -v3, v6, v5
	v_fmac_f32_e32 v6, v7, v4
	v_fma_f32 v3, -v3, v6, v5
	v_div_fmas_f32 v3, v3, v4, v6
	v_div_fixup_f32 v2, v3, v1, v2
.LBB22_743:
	s_or_b64 exec, exec, s[10:11]
	v_mov_b32_e32 v1, 0
	s_and_b32 s12, s73, 0xff
	s_cmp_lt_i32 s12, 11
	v_lshl_add_u64 v[0:1], s[20:21], 0, v[0:1]
	s_cbranch_scc1 .LBB22_750
; %bb.744:
	s_and_b32 s13, 0xffff, s12
	s_cmp_gt_i32 s13, 25
	s_cbranch_scc0 .LBB22_751
; %bb.745:
	s_cmp_gt_i32 s13, 28
	s_cbranch_scc0 .LBB22_752
; %bb.746:
	s_cmp_gt_i32 s13, 43
	s_cbranch_scc0 .LBB22_753
; %bb.747:
	s_cmp_gt_i32 s13, 45
	s_cbranch_scc0 .LBB22_754
; %bb.748:
	s_mov_b64 s[6:7], 0
	s_mov_b64 s[2:3], -1
	s_cmp_eq_u32 s13, 46
	s_mov_b64 s[4:5], 0
	s_cbranch_scc0 .LBB22_755
; %bb.749:
	v_bfe_u32 v3, v2, 16, 1
	s_movk_i32 s2, 0x7fff
	v_add3_u32 v3, v2, v3, s2
	v_cmp_o_f32_e32 vcc, v2, v2
	v_mov_b32_e32 v4, 0x7fc0
	s_mov_b64 s[4:5], -1
	v_cndmask_b32_sdwa v3, v4, v3, vcc dst_sel:DWORD dst_unused:UNUSED_PAD src0_sel:DWORD src1_sel:WORD_1
	global_store_dword v[0:1], v3, off
	s_mov_b64 s[2:3], 0
	s_branch .LBB22_755
.LBB22_750:
	s_mov_b64 s[6:7], -1
	s_mov_b64 s[4:5], 0
	s_mov_b64 s[2:3], s[62:63]
	s_branch .LBB22_824
.LBB22_751:
	s_mov_b64 s[6:7], -1
	s_mov_b64 s[4:5], 0
	s_mov_b64 s[2:3], s[62:63]
	s_branch .LBB22_782
.LBB22_752:
	s_mov_b64 s[6:7], -1
	s_mov_b64 s[4:5], 0
	s_mov_b64 s[2:3], s[62:63]
	s_branch .LBB22_765
.LBB22_753:
	s_mov_b64 s[6:7], -1
	s_mov_b64 s[4:5], 0
	s_mov_b64 s[2:3], s[62:63]
	s_branch .LBB22_761
.LBB22_754:
	s_mov_b64 s[6:7], -1
	s_mov_b64 s[4:5], 0
	s_mov_b64 s[2:3], s[62:63]
.LBB22_755:
	s_and_b64 vcc, exec, s[6:7]
	s_cbranch_vccz .LBB22_760
; %bb.756:
	s_cmp_eq_u32 s13, 44
	s_mov_b64 s[2:3], -1
	s_cbranch_scc0 .LBB22_760
; %bb.757:
	v_bfe_u32 v3, v2, 23, 8
	s_movk_i32 s2, 0xff
	v_cmp_ne_u32_e32 vcc, s2, v3
	v_mov_b32_e32 v4, 0xff
	s_and_saveexec_b64 s[4:5], vcc
; %bb.758:
	s_mov_b32 s2, 0x3fffff
	v_and_b32_e32 v5, 0x400000, v2
	v_and_or_b32 v3, v2, s2, v3
	v_cmp_ne_u32_e32 vcc, 0, v5
	v_cmp_ne_u32_e64 s[2:3], 0, v3
	s_and_b64 s[2:3], vcc, s[2:3]
	v_lshrrev_b32_e32 v4, 23, v2
	v_cndmask_b32_e64 v3, 0, 1, s[2:3]
	v_add_u32_e32 v4, v4, v3
; %bb.759:
	s_or_b64 exec, exec, s[4:5]
	s_mov_b64 s[4:5], -1
	s_mov_b64 s[2:3], 0
	global_store_byte v[0:1], v4, off
.LBB22_760:
	s_mov_b64 s[6:7], 0
.LBB22_761:
	s_and_b64 vcc, exec, s[6:7]
	s_cbranch_vccz .LBB22_764
; %bb.762:
	s_cmp_eq_u32 s13, 29
	s_mov_b64 s[2:3], -1
	s_cbranch_scc0 .LBB22_764
; %bb.763:
	v_trunc_f32_e32 v3, v2
	v_mul_f32_e32 v4, 0x2f800000, v3
	v_floor_f32_e32 v4, v4
	v_fmamk_f32 v3, v4, 0xcf800000, v3
	v_cvt_u32_f32_e32 v5, v4
	v_cvt_u32_f32_e32 v4, v3
	s_mov_b64 s[4:5], -1
	s_mov_b64 s[2:3], 0
	s_mov_b64 s[6:7], 0
	global_store_dwordx2 v[0:1], v[4:5], off
	s_branch .LBB22_765
.LBB22_764:
	s_mov_b64 s[6:7], 0
.LBB22_765:
	s_and_b64 vcc, exec, s[6:7]
	s_cbranch_vccz .LBB22_781
; %bb.766:
	s_cmp_lt_i32 s13, 27
	s_mov_b64 s[4:5], -1
	s_cbranch_scc1 .LBB22_772
; %bb.767:
	v_cvt_u32_f32_e32 v3, v2
	s_cmp_gt_i32 s13, 27
	s_cbranch_scc0 .LBB22_769
; %bb.768:
	s_mov_b64 s[4:5], 0
	global_store_dword v[0:1], v3, off
.LBB22_769:
	s_andn2_b64 vcc, exec, s[4:5]
	s_cbranch_vccnz .LBB22_771
; %bb.770:
	global_store_short v[0:1], v3, off
.LBB22_771:
	s_mov_b64 s[4:5], 0
.LBB22_772:
	s_andn2_b64 vcc, exec, s[4:5]
	s_cbranch_vccnz .LBB22_780
; %bb.773:
	v_and_b32_e32 v3, 0x7fffffff, v2
	s_mov_b32 s4, 0x43800000
	v_cmp_gt_u32_e32 vcc, s4, v3
	v_mov_b32_e32 v4, 0x80
	s_and_saveexec_b64 s[4:5], vcc
	s_cbranch_execz .LBB22_779
; %bb.774:
	s_mov_b32 s6, 0x3bffffff
	v_cmp_lt_u32_e32 vcc, s6, v3
	s_mov_b64 s[6:7], 0
                                        ; implicit-def: $vgpr3
	s_and_saveexec_b64 s[10:11], vcc
	s_xor_b64 s[10:11], exec, s[10:11]
	s_cbranch_execz .LBB22_897
; %bb.775:
	v_bfe_u32 v3, v2, 20, 1
	s_mov_b32 s14, 0x487ffff
	v_add3_u32 v3, v2, v3, s14
	s_mov_b64 s[6:7], exec
	v_lshrrev_b32_e32 v3, 20, v3
	s_andn2_saveexec_b64 s[10:11], s[10:11]
	s_cbranch_execnz .LBB22_898
.LBB22_776:
	s_or_b64 exec, exec, s[10:11]
	v_mov_b32_e32 v4, 0
	s_and_saveexec_b64 s[10:11], s[6:7]
.LBB22_777:
	v_lshrrev_b32_e32 v4, 24, v2
	s_movk_i32 s6, 0x80
	v_and_or_b32 v4, v4, s6, v3
.LBB22_778:
	s_or_b64 exec, exec, s[10:11]
.LBB22_779:
	s_or_b64 exec, exec, s[4:5]
	global_store_byte v[0:1], v4, off
.LBB22_780:
	s_mov_b64 s[4:5], -1
.LBB22_781:
	s_mov_b64 s[6:7], 0
.LBB22_782:
	s_and_b64 vcc, exec, s[6:7]
	s_cbranch_vccz .LBB22_823
; %bb.783:
	s_cmp_gt_i32 s13, 22
	s_mov_b64 s[6:7], -1
	s_cbranch_scc0 .LBB22_815
; %bb.784:
	s_cmp_lt_i32 s13, 24
	s_mov_b64 s[4:5], -1
	s_cbranch_scc1 .LBB22_804
; %bb.785:
	s_cmp_gt_i32 s13, 24
	s_cbranch_scc0 .LBB22_793
; %bb.786:
	v_and_b32_e32 v3, 0x7fffffff, v2
	s_mov_b32 s4, 0x47800000
	v_cmp_gt_u32_e32 vcc, s4, v3
	v_mov_b32_e32 v4, 0x80
	s_and_saveexec_b64 s[4:5], vcc
	s_cbranch_execz .LBB22_792
; %bb.787:
	s_mov_b32 s6, 0x37ffffff
	v_cmp_lt_u32_e32 vcc, s6, v3
	s_mov_b64 s[6:7], 0
                                        ; implicit-def: $vgpr3
	s_and_saveexec_b64 s[10:11], vcc
	s_xor_b64 s[10:11], exec, s[10:11]
	s_cbranch_execz .LBB22_900
; %bb.788:
	v_bfe_u32 v3, v2, 21, 1
	s_mov_b32 s14, 0x88fffff
	v_add3_u32 v3, v2, v3, s14
	s_mov_b64 s[6:7], exec
	v_lshrrev_b32_e32 v3, 21, v3
	s_andn2_saveexec_b64 s[10:11], s[10:11]
	s_cbranch_execnz .LBB22_901
.LBB22_789:
	s_or_b64 exec, exec, s[10:11]
	v_mov_b32_e32 v4, 0
	s_and_saveexec_b64 s[10:11], s[6:7]
.LBB22_790:
	v_lshrrev_b32_e32 v4, 24, v2
	s_movk_i32 s6, 0x80
	v_and_or_b32 v4, v4, s6, v3
.LBB22_791:
	s_or_b64 exec, exec, s[10:11]
.LBB22_792:
	s_or_b64 exec, exec, s[4:5]
	s_mov_b64 s[4:5], 0
	global_store_byte v[0:1], v4, off
.LBB22_793:
	s_and_b64 vcc, exec, s[4:5]
	s_cbranch_vccz .LBB22_803
; %bb.794:
	v_and_b32_e32 v4, 0x7fffffff, v2
	s_mov_b32 s4, 0x43f00000
	v_cmp_gt_u32_e32 vcc, s4, v4
                                        ; implicit-def: $vgpr3
	s_and_saveexec_b64 s[4:5], vcc
	s_xor_b64 s[4:5], exec, s[4:5]
	s_cbranch_execz .LBB22_800
; %bb.795:
	s_mov_b32 s6, 0x3c7fffff
	v_cmp_lt_u32_e32 vcc, s6, v4
                                        ; implicit-def: $vgpr3
	s_and_saveexec_b64 s[6:7], vcc
	s_xor_b64 s[6:7], exec, s[6:7]
; %bb.796:
	v_bfe_u32 v3, v2, 20, 1
	s_mov_b32 s10, 0x407ffff
	v_add3_u32 v3, v2, v3, s10
	v_lshrrev_b32_e32 v4, 20, v3
	v_and_b32_e32 v3, 0xff00000, v3
	s_mov_b32 s10, 0x7f00000
	v_mov_b32_e32 v5, 0x7e
	v_cmp_ne_u32_e32 vcc, s10, v3
	s_nop 1
	v_cndmask_b32_e32 v3, v5, v4, vcc
; %bb.797:
	s_andn2_saveexec_b64 s[6:7], s[6:7]
; %bb.798:
	s_mov_b32 s10, 0x46800000
	v_add_f32_e64 v3, |v2|, s10
; %bb.799:
	s_or_b64 exec, exec, s[6:7]
                                        ; implicit-def: $vgpr4
.LBB22_800:
	s_andn2_saveexec_b64 s[4:5], s[4:5]
; %bb.801:
	s_mov_b32 s6, 0x7f800000
	v_mov_b32_e32 v3, 0x7e
	v_mov_b32_e32 v5, 0x7f
	v_cmp_lt_u32_e32 vcc, s6, v4
	s_nop 1
	v_cndmask_b32_e32 v3, v3, v5, vcc
; %bb.802:
	s_or_b64 exec, exec, s[4:5]
	v_lshrrev_b32_e32 v4, 24, v2
	s_movk_i32 s4, 0x80
	v_and_or_b32 v3, v4, s4, v3
	global_store_byte v[0:1], v3, off
.LBB22_803:
	s_mov_b64 s[4:5], 0
.LBB22_804:
	s_andn2_b64 vcc, exec, s[4:5]
	s_cbranch_vccnz .LBB22_814
; %bb.805:
	v_and_b32_e32 v4, 0x7fffffff, v2
	s_mov_b32 s4, 0x47800000
	v_cmp_gt_u32_e32 vcc, s4, v4
                                        ; implicit-def: $vgpr3
	s_and_saveexec_b64 s[4:5], vcc
	s_xor_b64 s[4:5], exec, s[4:5]
	s_cbranch_execz .LBB22_811
; %bb.806:
	s_mov_b32 s6, 0x387fffff
	v_cmp_lt_u32_e32 vcc, s6, v4
                                        ; implicit-def: $vgpr3
	s_and_saveexec_b64 s[6:7], vcc
	s_xor_b64 s[6:7], exec, s[6:7]
; %bb.807:
	v_bfe_u32 v3, v2, 21, 1
	s_mov_b32 s10, 0x80fffff
	v_add3_u32 v3, v2, v3, s10
	v_lshrrev_b32_e32 v3, 21, v3
; %bb.808:
	s_andn2_saveexec_b64 s[6:7], s[6:7]
; %bb.809:
	s_mov_b32 s10, 0x43000000
	v_add_f32_e64 v3, |v2|, s10
; %bb.810:
	s_or_b64 exec, exec, s[6:7]
                                        ; implicit-def: $vgpr4
.LBB22_811:
	s_andn2_saveexec_b64 s[4:5], s[4:5]
; %bb.812:
	s_mov_b32 s6, 0x7f800000
	v_mov_b32_e32 v3, 0x7c
	v_mov_b32_e32 v5, 0x7f
	v_cmp_lt_u32_e32 vcc, s6, v4
	s_nop 1
	v_cndmask_b32_e32 v3, v3, v5, vcc
; %bb.813:
	s_or_b64 exec, exec, s[4:5]
	v_lshrrev_b32_e32 v4, 24, v2
	s_movk_i32 s4, 0x80
	v_and_or_b32 v3, v4, s4, v3
	global_store_byte v[0:1], v3, off
.LBB22_814:
	s_mov_b64 s[6:7], 0
	s_mov_b64 s[4:5], -1
.LBB22_815:
	s_andn2_b64 vcc, exec, s[6:7]
	s_cbranch_vccnz .LBB22_823
; %bb.816:
	s_cmp_gt_i32 s13, 14
	s_mov_b64 s[6:7], -1
	s_cbranch_scc0 .LBB22_820
; %bb.817:
	s_cmp_eq_u32 s13, 15
	s_mov_b64 s[2:3], -1
	s_cbranch_scc0 .LBB22_819
; %bb.818:
	v_bfe_u32 v3, v2, 16, 1
	s_movk_i32 s2, 0x7fff
	v_add3_u32 v3, v2, v3, s2
	v_cmp_o_f32_e32 vcc, v2, v2
	v_mov_b32_e32 v4, 0x7fc0
	s_mov_b64 s[4:5], -1
	v_cndmask_b32_sdwa v3, v4, v3, vcc dst_sel:DWORD dst_unused:UNUSED_PAD src0_sel:DWORD src1_sel:WORD_1
	global_store_short v[0:1], v3, off
	s_mov_b64 s[2:3], 0
.LBB22_819:
	s_mov_b64 s[6:7], 0
.LBB22_820:
	s_and_b64 vcc, exec, s[6:7]
	s_cbranch_vccz .LBB22_823
; %bb.821:
	s_cmp_eq_u32 s13, 11
	s_mov_b64 s[2:3], -1
	s_cbranch_scc0 .LBB22_823
; %bb.822:
	v_cmp_neq_f32_e32 vcc, 0, v2
	s_mov_b64 s[4:5], -1
	s_mov_b64 s[2:3], 0
	v_cndmask_b32_e64 v3, 0, 1, vcc
	global_store_byte v[0:1], v3, off
.LBB22_823:
	s_mov_b64 s[6:7], 0
.LBB22_824:
	s_and_b64 vcc, exec, s[6:7]
	s_cbranch_vccz .LBB22_863
; %bb.825:
	s_and_b32 s6, 0xffff, s12
	s_cmp_lt_i32 s6, 5
	s_mov_b64 s[4:5], -1
	s_cbranch_scc1 .LBB22_846
; %bb.826:
	s_cmp_lt_i32 s6, 8
	s_cbranch_scc1 .LBB22_836
; %bb.827:
	s_cmp_lt_i32 s6, 9
	s_cbranch_scc1 .LBB22_833
; %bb.828:
	s_cmp_gt_i32 s6, 9
	s_cbranch_scc0 .LBB22_830
; %bb.829:
	v_mov_b32_e32 v6, 0
	v_cvt_f64_f32_e32 v[4:5], v2
	v_mov_b32_e32 v7, v6
	s_mov_b64 s[4:5], 0
	global_store_dwordx4 v[0:1], v[4:7], off
.LBB22_830:
	s_andn2_b64 vcc, exec, s[4:5]
	s_cbranch_vccnz .LBB22_832
; %bb.831:
	v_mov_b32_e32 v3, 0
	global_store_dwordx2 v[0:1], v[2:3], off
.LBB22_832:
	s_mov_b64 s[4:5], 0
.LBB22_833:
	s_andn2_b64 vcc, exec, s[4:5]
	s_cbranch_vccnz .LBB22_835
; %bb.834:
	v_cvt_f16_f32_e32 v3, v2
	global_store_dword v[0:1], v3, off
.LBB22_835:
	s_mov_b64 s[4:5], 0
.LBB22_836:
	s_andn2_b64 vcc, exec, s[4:5]
	s_cbranch_vccnz .LBB22_845
; %bb.837:
	s_cmp_lt_i32 s6, 6
	s_mov_b64 s[4:5], -1
	s_cbranch_scc1 .LBB22_843
; %bb.838:
	s_cmp_gt_i32 s6, 6
	s_cbranch_scc0 .LBB22_840
; %bb.839:
	v_cvt_f64_f32_e32 v[4:5], v2
	s_mov_b64 s[4:5], 0
	global_store_dwordx2 v[0:1], v[4:5], off
.LBB22_840:
	s_andn2_b64 vcc, exec, s[4:5]
	s_cbranch_vccnz .LBB22_842
; %bb.841:
	global_store_dword v[0:1], v2, off
.LBB22_842:
	s_mov_b64 s[4:5], 0
.LBB22_843:
	s_andn2_b64 vcc, exec, s[4:5]
	s_cbranch_vccnz .LBB22_845
; %bb.844:
	v_cvt_f16_f32_e32 v3, v2
	global_store_short v[0:1], v3, off
.LBB22_845:
	s_mov_b64 s[4:5], 0
.LBB22_846:
	s_andn2_b64 vcc, exec, s[4:5]
	s_cbranch_vccnz .LBB22_862
; %bb.847:
	s_cmp_lt_i32 s6, 2
	s_mov_b64 s[4:5], -1
	s_cbranch_scc1 .LBB22_857
; %bb.848:
	s_cmp_lt_i32 s6, 3
	s_cbranch_scc1 .LBB22_854
; %bb.849:
	s_cmp_gt_i32 s6, 3
	s_cbranch_scc0 .LBB22_851
; %bb.850:
	v_trunc_f32_e32 v3, v2
	s_mov_b32 s4, 0x2f800000
	v_mul_f32_e64 v4, |v3|, s4
	v_floor_f32_e32 v4, v4
	s_mov_b32 s4, 0xcf800000
	v_cvt_u32_f32_e32 v5, v4
	v_fma_f32 v4, v4, s4, |v3|
	v_cvt_u32_f32_e32 v4, v4
	v_ashrrev_i32_e32 v3, 31, v3
	v_xor_b32_e32 v5, v5, v3
	s_mov_b64 s[4:5], 0
	v_xor_b32_e32 v4, v4, v3
	v_sub_co_u32_e32 v4, vcc, v4, v3
	s_nop 1
	v_subb_co_u32_e32 v5, vcc, v5, v3, vcc
	global_store_dwordx2 v[0:1], v[4:5], off
.LBB22_851:
	s_andn2_b64 vcc, exec, s[4:5]
	s_cbranch_vccnz .LBB22_853
; %bb.852:
	v_cvt_i32_f32_e32 v3, v2
	global_store_dword v[0:1], v3, off
.LBB22_853:
	s_mov_b64 s[4:5], 0
.LBB22_854:
	s_andn2_b64 vcc, exec, s[4:5]
	s_cbranch_vccnz .LBB22_856
; %bb.855:
	v_cvt_i32_f32_e32 v3, v2
	global_store_short v[0:1], v3, off
.LBB22_856:
	s_mov_b64 s[4:5], 0
.LBB22_857:
	s_andn2_b64 vcc, exec, s[4:5]
	s_cbranch_vccnz .LBB22_862
; %bb.858:
	s_cmp_gt_i32 s6, 0
	s_mov_b64 s[4:5], -1
	s_cbranch_scc0 .LBB22_860
; %bb.859:
	v_cvt_i32_f32_e32 v3, v2
	s_mov_b64 s[4:5], 0
	global_store_byte v[0:1], v3, off
.LBB22_860:
	s_andn2_b64 vcc, exec, s[4:5]
	s_cbranch_vccnz .LBB22_862
; %bb.861:
	v_trunc_f32_e32 v2, v2
	s_mov_b32 s4, 0x2f800000
	v_mul_f32_e64 v3, |v2|, s4
	v_floor_f32_e32 v3, v3
	s_mov_b32 s4, 0xcf800000
	v_fma_f32 v3, v3, s4, |v2|
	v_cvt_u32_f32_e32 v3, v3
	v_ashrrev_i32_e32 v2, 31, v2
	v_xor_b32_e32 v3, v3, v2
	v_sub_u32_e32 v2, v3, v2
	global_store_byte v[0:1], v2, off
.LBB22_862:
	s_mov_b64 s[4:5], -1
.LBB22_863:
	s_andn2_b64 vcc, exec, s[4:5]
	s_cbranch_vccnz .LBB22_865
; %bb.864:
	v_add_u32_e32 v13, 0x80, v13
	s_mov_b64 s[4:5], -1
	s_branch .LBB22_867
.LBB22_865:
	s_mov_b64 s[4:5], 0
.LBB22_866:
                                        ; implicit-def: $vgpr13
.LBB22_867:
	s_andn2_b64 s[6:7], s[62:63], exec
	s_and_b64 s[2:3], s[2:3], exec
	s_or_b64 s[68:69], s[6:7], s[2:3]
	s_andn2_b64 s[2:3], s[60:61], exec
	s_and_b64 s[6:7], s[8:9], exec
	s_or_b64 s[2:3], s[2:3], s[6:7]
	s_orn2_b64 s[6:7], s[4:5], exec
.LBB22_868:
	s_or_b64 exec, exec, s[66:67]
	s_mov_b64 s[4:5], 0
	s_mov_b64 s[10:11], 0
	;; [unrolled: 1-line block ×3, first 2 shown]
                                        ; implicit-def: $vgpr2_vgpr3
                                        ; implicit-def: $vgpr0
                                        ; implicit-def: $vgpr1
	s_and_saveexec_b64 s[66:67], s[6:7]
	s_cbranch_execz .LBB22_968
; %bb.869:
	v_cmp_gt_i32_e32 vcc, s70, v13
	s_mov_b64 s[6:7], 0
	s_mov_b64 s[12:13], s[2:3]
                                        ; implicit-def: $vgpr2_vgpr3
                                        ; implicit-def: $vgpr0
                                        ; implicit-def: $vgpr1
	s_and_saveexec_b64 s[70:71], vcc
	s_cbranch_execz .LBB22_967
; %bb.870:
	s_andn2_b64 vcc, exec, s[42:43]
	s_cbranch_vccnz .LBB22_876
; %bb.871:
	s_andn2_b64 vcc, exec, s[52:53]
	s_cbranch_vccnz .LBB22_877
; %bb.872:
	s_add_i32 s76, s75, 1
	s_cmp_eq_u32 s72, 2
	s_cbranch_scc1 .LBB22_878
; %bb.873:
	s_and_b32 s75, s76, 28
	s_mov_b32 s77, 0
	v_mov_b32_e32 v0, 0
	v_mov_b32_e32 v2, 0
	s_mov_b64 s[52:53], s[34:35]
	v_mov_b32_e32 v4, v13
.LBB22_874:                             ; =>This Inner Loop Header: Depth=1
	s_load_dwordx8 s[12:19], s[52:53], 0x4
	s_load_dwordx4 s[36:39], s[52:53], 0x24
	s_load_dwordx8 s[4:11], s[50:51], 0x0
	s_add_u32 s52, s52, 48
	s_addc_u32 s53, s53, 0
	s_waitcnt vmcnt(0) lgkmcnt(0)
	v_mul_hi_u32 v1, s13, v4
	v_add_u32_e32 v1, v4, v1
	v_lshrrev_b32_e32 v1, s14, v1
	v_mul_lo_u32 v3, v1, s12
	v_mul_hi_u32 v5, s16, v1
	v_sub_u32_e32 v3, v4, v3
	v_add_u32_e32 v4, v1, v5
	v_lshrrev_b32_e32 v4, s17, v4
	v_mul_lo_u32 v6, v4, s15
	v_mul_hi_u32 v7, s19, v4
	v_sub_u32_e32 v1, v1, v6
	v_add_u32_e32 v6, v4, v7
	v_mul_lo_u32 v5, v3, s5
	v_mul_lo_u32 v3, v3, s4
	;; [unrolled: 1-line block ×4, first 2 shown]
	v_lshrrev_b32_e32 v6, s36, v6
	v_add3_u32 v0, v3, v0, v1
	v_mul_hi_u32 v3, s38, v6
	v_add3_u32 v1, v5, v2, v7
	v_mul_lo_u32 v2, v6, s18
	v_add_u32_e32 v3, v6, v3
	v_sub_u32_e32 v2, v4, v2
	v_lshrrev_b32_e32 v4, s39, v3
	s_add_i32 s77, s77, 4
	v_mul_lo_u32 v3, v4, s37
	s_add_u32 s50, s50, 32
	v_sub_u32_e32 v3, v6, v3
	s_addc_u32 s51, s51, 0
	v_mul_lo_u32 v5, v2, s8
	v_mul_lo_u32 v2, v2, s9
	;; [unrolled: 1-line block ×4, first 2 shown]
	s_cmp_eq_u32 s75, s77
	v_add3_u32 v2, v2, v1, v3
	v_add3_u32 v0, v5, v0, v6
	s_cbranch_scc0 .LBB22_874
; %bb.875:
	v_mov_b32_e32 v1, v2
	s_branch .LBB22_879
.LBB22_876:
	s_mov_b64 s[4:5], -1
                                        ; implicit-def: $vgpr2
                                        ; implicit-def: $vgpr0
	s_branch .LBB22_883
.LBB22_877:
	v_mov_b32_e32 v2, 0
	v_mov_b32_e32 v0, 0
	s_branch .LBB22_882
.LBB22_878:
	v_mov_b32_e32 v0, 0
	s_mov_b32 s75, 0
	s_waitcnt vmcnt(0)
	v_mov_b32_e32 v1, v0
                                        ; implicit-def: $vgpr2
	v_mov_b32_e32 v4, v13
.LBB22_879:
	s_and_b32 s8, s76, 3
	s_cmp_eq_u32 s8, 0
	s_cbranch_scc1 .LBB22_882
; %bb.880:
	s_lshl_b32 s4, s75, 3
	s_add_u32 s4, s34, s4
	s_addc_u32 s5, s35, 0
	s_add_u32 s4, s4, 0xc4
	s_addc_u32 s5, s5, 0
	s_mul_i32 s6, s75, 12
	s_add_u32 s6, s34, s6
	s_addc_u32 s7, s35, 0
.LBB22_881:                             ; =>This Inner Loop Header: Depth=1
	s_load_dwordx2 s[10:11], s[6:7], 0x4
	s_load_dword s9, s[6:7], 0xc
	s_load_dwordx2 s[12:13], s[4:5], 0x0
	v_mov_b32_e32 v2, v1
	s_add_u32 s6, s6, 12
	s_waitcnt lgkmcnt(0)
	v_mul_hi_u32 v1, s11, v4
	v_add_u32_e32 v1, v4, v1
	v_lshrrev_b32_e32 v1, s9, v1
	s_addc_u32 s7, s7, 0
	v_mul_lo_u32 v3, v1, s10
	s_add_u32 s4, s4, 8
	v_sub_u32_e32 v5, v4, v3
	s_addc_u32 s5, s5, 0
	s_add_i32 s8, s8, -1
	v_mov_b32_e32 v4, v1
	v_mad_u64_u32 v[2:3], s[10:11], v5, s13, v[2:3]
	v_mad_u64_u32 v[0:1], s[10:11], v5, s12, v[0:1]
	s_cmp_lg_u32 s8, 0
	v_mov_b32_e32 v1, v2
	s_cbranch_scc1 .LBB22_881
.LBB22_882:
	s_mov_b64 s[4:5], 0
.LBB22_883:
	s_andn2_b64 vcc, exec, s[4:5]
	s_cbranch_vccnz .LBB22_886
; %bb.884:
	s_waitcnt lgkmcnt(0)
	v_mul_hi_u32 v0, s29, v13
	v_add_u32_e32 v0, v13, v0
	s_waitcnt vmcnt(0)
	v_lshrrev_b32_e32 v1, s30, v0
	v_mul_lo_u32 v0, v1, s28
	v_sub_u32_e32 v0, v13, v0
	v_mul_lo_u32 v2, v0, s25
	s_andn2_b64 vcc, exec, s[48:49]
	v_mul_lo_u32 v0, v0, s24
	s_cbranch_vccnz .LBB22_886
; %bb.885:
	v_mul_hi_u32 v3, s46, v1
	v_add_u32_e32 v3, v1, v3
	v_lshrrev_b32_e32 v3, s47, v3
	v_mul_lo_u32 v3, v3, s31
	v_sub_u32_e32 v3, v1, v3
	v_mad_u64_u32 v[0:1], s[4:5], v3, s26, v[0:1]
	v_mad_u64_u32 v[2:3], s[4:5], v3, s27, v[2:3]
.LBB22_886:
	v_mov_b32_e32 v3, 0
	s_and_b32 s14, 0xffff, s74
	s_cmp_lt_i32 s14, 11
	s_waitcnt lgkmcnt(0)
	v_lshl_add_u64 v[2:3], s[22:23], 0, v[2:3]
	s_cbranch_scc1 .LBB22_893
; %bb.887:
	s_cmp_gt_i32 s14, 25
	s_mov_b64 s[6:7], 0
	s_cbranch_scc0 .LBB22_894
; %bb.888:
	s_cmp_gt_i32 s14, 28
	s_cbranch_scc0 .LBB22_895
; %bb.889:
	s_cmp_gt_i32 s14, 43
	;; [unrolled: 3-line block ×3, first 2 shown]
	s_cbranch_scc0 .LBB22_899
; %bb.891:
	s_cmp_eq_u32 s14, 46
	s_mov_b64 s[10:11], 0
	s_cbranch_scc0 .LBB22_902
; %bb.892:
	global_load_dword v1, v[2:3], off
	s_mov_b64 s[4:5], 0
	s_mov_b64 s[8:9], -1
	s_waitcnt vmcnt(0)
	v_lshlrev_b32_e32 v1, 16, v1
	s_branch .LBB22_903
.LBB22_893:
	s_mov_b64 s[10:11], -1
	s_mov_b64 s[8:9], 0
	s_mov_b64 s[6:7], 0
	;; [unrolled: 1-line block ×3, first 2 shown]
                                        ; implicit-def: $vgpr1
	s_branch .LBB22_966
.LBB22_894:
	s_mov_b64 s[10:11], -1
	s_mov_b64 s[8:9], 0
	s_mov_b64 s[4:5], s[2:3]
                                        ; implicit-def: $vgpr1
	s_branch .LBB22_932
.LBB22_895:
	s_mov_b64 s[10:11], -1
	s_mov_b64 s[8:9], 0
	s_mov_b64 s[4:5], s[2:3]
                                        ; implicit-def: $vgpr1
	s_branch .LBB22_913
.LBB22_896:
	s_mov_b64 s[10:11], -1
	s_mov_b64 s[8:9], 0
	s_mov_b64 s[4:5], s[2:3]
                                        ; implicit-def: $vgpr1
	s_branch .LBB22_908
.LBB22_897:
	s_andn2_saveexec_b64 s[10:11], s[10:11]
	s_cbranch_execz .LBB22_776
.LBB22_898:
	s_mov_b32 s14, 0x46000000
	v_add_f32_e64 v3, |v2|, s14
	v_and_b32_e32 v3, 0xff, v3
	v_cmp_ne_u32_e32 vcc, 0, v3
	s_andn2_b64 s[6:7], s[6:7], exec
	s_and_b64 s[14:15], vcc, exec
	s_or_b64 s[6:7], s[6:7], s[14:15]
	s_or_b64 exec, exec, s[10:11]
	v_mov_b32_e32 v4, 0
	s_and_saveexec_b64 s[10:11], s[6:7]
	s_cbranch_execnz .LBB22_777
	s_branch .LBB22_778
.LBB22_899:
	s_mov_b64 s[10:11], -1
	s_mov_b64 s[8:9], 0
	s_mov_b64 s[4:5], s[2:3]
                                        ; implicit-def: $vgpr1
	s_branch .LBB22_903
.LBB22_900:
	s_andn2_saveexec_b64 s[10:11], s[10:11]
	s_cbranch_execz .LBB22_789
.LBB22_901:
	s_mov_b32 s14, 0x42800000
	v_add_f32_e64 v3, |v2|, s14
	v_and_b32_e32 v3, 0xff, v3
	v_cmp_ne_u32_e32 vcc, 0, v3
	s_andn2_b64 s[6:7], s[6:7], exec
	s_and_b64 s[14:15], vcc, exec
	s_or_b64 s[6:7], s[6:7], s[14:15]
	s_or_b64 exec, exec, s[10:11]
	v_mov_b32_e32 v4, 0
	s_and_saveexec_b64 s[10:11], s[6:7]
	s_cbranch_execnz .LBB22_790
	s_branch .LBB22_791
.LBB22_902:
	s_mov_b64 s[4:5], -1
                                        ; implicit-def: $vgpr1
	s_mov_b64 s[8:9], 0
.LBB22_903:
	s_and_b64 vcc, exec, s[10:11]
	s_cbranch_vccz .LBB22_907
; %bb.904:
	s_cmp_eq_u32 s14, 44
	s_cbranch_scc0 .LBB22_906
; %bb.905:
	global_load_ubyte v1, v[2:3], off
	s_movk_i32 s8, 0xff
	v_mov_b32_e32 v4, 0x7f800001
	v_mov_b32_e32 v5, 0x400000
	s_mov_b64 s[4:5], 0
	s_waitcnt vmcnt(0)
	v_lshlrev_b32_e32 v6, 23, v1
	v_cmp_ne_u32_e32 vcc, s8, v1
	s_mov_b64 s[8:9], -1
	s_nop 0
	v_cndmask_b32_e32 v4, v4, v6, vcc
	v_cmp_ne_u32_e32 vcc, 0, v1
	s_nop 1
	v_cndmask_b32_e32 v1, v5, v4, vcc
	s_branch .LBB22_907
.LBB22_906:
	s_mov_b64 s[4:5], -1
                                        ; implicit-def: $vgpr1
.LBB22_907:
	s_mov_b64 s[10:11], 0
.LBB22_908:
	s_and_b64 vcc, exec, s[10:11]
	s_cbranch_vccz .LBB22_912
; %bb.909:
	s_cmp_eq_u32 s14, 29
	s_cbranch_scc0 .LBB22_911
; %bb.910:
	global_load_dwordx2 v[4:5], v[2:3], off
	s_mov_b64 s[4:5], 0
	s_mov_b64 s[8:9], -1
	s_mov_b64 s[10:11], 0
	s_waitcnt vmcnt(0)
	v_ffbh_u32_e32 v1, v5
	v_min_u32_e32 v1, 32, v1
	v_lshlrev_b64 v[4:5], v1, v[4:5]
	v_min_u32_e32 v4, 1, v4
	v_or_b32_e32 v4, v5, v4
	v_cvt_f32_u32_e32 v4, v4
	v_sub_u32_e32 v1, 32, v1
	v_ldexp_f32 v1, v4, v1
	s_branch .LBB22_913
.LBB22_911:
	s_mov_b64 s[4:5], -1
                                        ; implicit-def: $vgpr1
.LBB22_912:
	s_mov_b64 s[10:11], 0
.LBB22_913:
	s_and_b64 vcc, exec, s[10:11]
	s_cbranch_vccz .LBB22_931
; %bb.914:
	s_cmp_lt_i32 s14, 27
	s_cbranch_scc1 .LBB22_917
; %bb.915:
	s_cmp_gt_i32 s14, 27
	s_cbranch_scc0 .LBB22_918
; %bb.916:
	global_load_dword v1, v[2:3], off
	s_mov_b64 s[8:9], 0
	s_waitcnt vmcnt(0)
	v_cvt_f32_u32_e32 v1, v1
	s_branch .LBB22_919
.LBB22_917:
	s_mov_b64 s[8:9], -1
                                        ; implicit-def: $vgpr1
	s_branch .LBB22_922
.LBB22_918:
	s_mov_b64 s[8:9], -1
                                        ; implicit-def: $vgpr1
.LBB22_919:
	s_andn2_b64 vcc, exec, s[8:9]
	s_cbranch_vccnz .LBB22_921
; %bb.920:
	global_load_ushort v1, v[2:3], off
	s_waitcnt vmcnt(0)
	v_cvt_f32_u32_e32 v1, v1
.LBB22_921:
	s_mov_b64 s[8:9], 0
.LBB22_922:
	s_andn2_b64 vcc, exec, s[8:9]
	s_cbranch_vccnz .LBB22_930
; %bb.923:
	global_load_ubyte v4, v[2:3], off
	s_movk_i32 s8, 0x7f
	s_waitcnt vmcnt(0)
	v_cmp_lt_i16_e32 vcc, s8, v4
	s_mov_b64 s[8:9], 0
	s_and_saveexec_b64 s[10:11], vcc
	s_xor_b64 s[10:11], exec, s[10:11]
	s_cbranch_execz .LBB22_944
; %bb.924:
	s_movk_i32 s8, 0x80
	v_cmp_eq_u16_e32 vcc, s8, v4
	s_mov_b64 s[8:9], -1
	s_and_saveexec_b64 s[12:13], vcc
; %bb.925:
	s_xor_b64 s[8:9], exec, -1
; %bb.926:
	s_or_b64 exec, exec, s[12:13]
	s_and_b64 s[8:9], s[8:9], exec
	s_or_saveexec_b64 s[10:11], s[10:11]
	v_mov_b32_e32 v1, 0x7f800001
	s_xor_b64 exec, exec, s[10:11]
	s_cbranch_execnz .LBB22_945
.LBB22_927:
	s_or_b64 exec, exec, s[10:11]
	s_and_saveexec_b64 s[10:11], s[8:9]
	s_cbranch_execz .LBB22_929
.LBB22_928:
	v_lshlrev_b32_e32 v1, 24, v4
	v_and_b32_e32 v4, 0xffff, v4
	v_and_b32_e32 v5, 7, v4
	v_ffbh_u32_e32 v7, v5
	v_min_u32_e32 v7, 32, v7
	v_subrev_u32_e32 v8, 28, v7
	v_bfe_u32 v6, v4, 3, 4
	v_lshlrev_b32_e32 v4, v8, v4
	v_sub_u32_e32 v7, 29, v7
	v_and_b32_e32 v4, 7, v4
	v_cmp_eq_u32_e32 vcc, 0, v6
	v_and_b32_e32 v1, 0x80000000, v1
	s_nop 0
	v_cndmask_b32_e32 v6, v6, v7, vcc
	v_cndmask_b32_e32 v4, v5, v4, vcc
	v_mov_b32_e32 v5, 0x3b800000
	v_lshlrev_b32_e32 v4, 20, v4
	v_lshl_add_u32 v5, v6, 23, v5
	v_or3_b32 v1, v1, v5, v4
.LBB22_929:
	s_or_b64 exec, exec, s[10:11]
.LBB22_930:
	s_mov_b64 s[8:9], -1
.LBB22_931:
	s_mov_b64 s[10:11], 0
.LBB22_932:
	s_and_b64 vcc, exec, s[10:11]
	s_cbranch_vccz .LBB22_965
; %bb.933:
	s_cmp_gt_i32 s14, 22
	s_cbranch_scc0 .LBB22_943
; %bb.934:
	s_cmp_lt_i32 s14, 24
	s_cbranch_scc1 .LBB22_946
; %bb.935:
	s_cmp_gt_i32 s14, 24
	s_cbranch_scc0 .LBB22_947
; %bb.936:
	global_load_ubyte v4, v[2:3], off
	s_movk_i32 s6, 0x7f
	s_waitcnt vmcnt(0)
	v_cmp_lt_i16_e32 vcc, s6, v4
	s_mov_b64 s[6:7], 0
	s_and_saveexec_b64 s[8:9], vcc
	s_xor_b64 s[8:9], exec, s[8:9]
	s_cbranch_execz .LBB22_959
; %bb.937:
	s_movk_i32 s6, 0x80
	v_cmp_eq_u16_e32 vcc, s6, v4
	s_mov_b64 s[6:7], -1
	s_and_saveexec_b64 s[10:11], vcc
; %bb.938:
	s_xor_b64 s[6:7], exec, -1
; %bb.939:
	s_or_b64 exec, exec, s[10:11]
	s_and_b64 s[6:7], s[6:7], exec
	s_or_saveexec_b64 s[8:9], s[8:9]
	v_mov_b32_e32 v1, 0x7f800001
	s_xor_b64 exec, exec, s[8:9]
	s_cbranch_execnz .LBB22_960
.LBB22_940:
	s_or_b64 exec, exec, s[8:9]
	s_and_saveexec_b64 s[8:9], s[6:7]
	s_cbranch_execz .LBB22_942
.LBB22_941:
	v_lshlrev_b32_e32 v1, 24, v4
	v_and_b32_e32 v4, 0xffff, v4
	v_and_b32_e32 v5, 3, v4
	v_ffbh_u32_e32 v7, v5
	v_min_u32_e32 v7, 32, v7
	v_subrev_u32_e32 v8, 29, v7
	v_bfe_u32 v6, v4, 2, 5
	v_lshlrev_b32_e32 v4, v8, v4
	v_sub_u32_e32 v7, 30, v7
	v_and_b32_e32 v4, 3, v4
	v_cmp_eq_u32_e32 vcc, 0, v6
	v_and_b32_e32 v1, 0x80000000, v1
	s_nop 0
	v_cndmask_b32_e32 v6, v6, v7, vcc
	v_cndmask_b32_e32 v4, v5, v4, vcc
	v_mov_b32_e32 v5, 0x37800000
	v_lshlrev_b32_e32 v4, 21, v4
	v_lshl_add_u32 v5, v6, 23, v5
	v_or3_b32 v1, v1, v5, v4
.LBB22_942:
	s_or_b64 exec, exec, s[8:9]
	s_mov_b64 s[6:7], 0
	s_branch .LBB22_948
.LBB22_943:
	s_mov_b64 s[6:7], -1
                                        ; implicit-def: $vgpr1
	s_branch .LBB22_954
.LBB22_944:
	s_or_saveexec_b64 s[10:11], s[10:11]
	v_mov_b32_e32 v1, 0x7f800001
	s_xor_b64 exec, exec, s[10:11]
	s_cbranch_execz .LBB22_927
.LBB22_945:
	v_cmp_ne_u16_e32 vcc, 0, v4
	s_andn2_b64 s[8:9], s[8:9], exec
	s_and_b64 s[12:13], vcc, exec
	v_mov_b32_e32 v1, 0
	s_or_b64 s[8:9], s[8:9], s[12:13]
	s_or_b64 exec, exec, s[10:11]
	s_and_saveexec_b64 s[10:11], s[8:9]
	s_cbranch_execnz .LBB22_928
	s_branch .LBB22_929
.LBB22_946:
	s_mov_b64 s[6:7], -1
                                        ; implicit-def: $vgpr1
	s_branch .LBB22_951
.LBB22_947:
	s_mov_b64 s[6:7], -1
                                        ; implicit-def: $vgpr1
.LBB22_948:
	s_and_b64 vcc, exec, s[6:7]
	s_cbranch_vccz .LBB22_950
; %bb.949:
	global_load_ubyte v1, v[2:3], off
	s_mov_b32 s6, 0x7f800000
	s_waitcnt vmcnt(0)
	v_lshlrev_b32_e32 v1, 24, v1
	v_and_b32_e32 v4, 0x7f000000, v1
	v_ffbh_u32_e32 v5, v4
	v_min_u32_e32 v5, 32, v5
	v_sub_u32_e64 v5, v5, 4 clamp
	v_lshlrev_b32_e32 v7, v5, v4
	v_lshlrev_b32_e32 v5, 23, v5
	v_lshrrev_b32_e32 v7, 4, v7
	v_add_u32_e32 v6, 0x1000000, v4
	v_sub_u32_e32 v5, v7, v5
	v_ashrrev_i32_e32 v6, 8, v6
	v_add_u32_e32 v5, 0x3c000000, v5
	v_and_or_b32 v5, v6, s6, v5
	v_cmp_ne_u32_e32 vcc, 0, v4
	s_brev_b32 s6, 1
	s_nop 0
	v_cndmask_b32_e32 v4, 0, v5, vcc
	v_and_or_b32 v1, v1, s6, v4
.LBB22_950:
	s_mov_b64 s[6:7], 0
.LBB22_951:
	s_andn2_b64 vcc, exec, s[6:7]
	s_cbranch_vccnz .LBB22_953
; %bb.952:
	global_load_ubyte v1, v[2:3], off
	s_movk_i32 s6, 0x7f00
	s_brev_b32 s7, 16
	s_waitcnt vmcnt(0)
	v_lshlrev_b16_e32 v4, 8, v1
	v_lshlrev_b32_e32 v1, 25, v1
	v_lshrrev_b32_e32 v5, 4, v1
	v_and_or_b32 v6, v4, s6, 0.5
	v_or_b32_e32 v5, 0x70000000, v5
	v_add_f32_e32 v6, -0.5, v6
	v_mul_f32_e32 v5, 0x7800000, v5
	v_cmp_gt_u32_e32 vcc, s7, v1
	v_bfe_i32 v4, v4, 0, 16
	s_brev_b32 s6, 1
	v_cndmask_b32_e32 v1, v5, v6, vcc
	v_and_or_b32 v1, v4, s6, v1
.LBB22_953:
	s_mov_b64 s[6:7], 0
	s_mov_b64 s[8:9], -1
.LBB22_954:
	s_andn2_b64 vcc, exec, s[6:7]
	s_mov_b64 s[6:7], 0
	s_cbranch_vccnz .LBB22_965
; %bb.955:
	s_cmp_gt_i32 s14, 14
	s_cbranch_scc0 .LBB22_958
; %bb.956:
	s_cmp_eq_u32 s14, 15
	s_cbranch_scc0 .LBB22_961
; %bb.957:
	global_load_ushort v1, v[2:3], off
	s_mov_b64 s[4:5], 0
	s_mov_b64 s[8:9], -1
	s_waitcnt vmcnt(0)
	v_lshlrev_b32_e32 v1, 16, v1
	s_branch .LBB22_962
.LBB22_958:
	s_mov_b64 s[10:11], -1
                                        ; implicit-def: $vgpr1
	s_branch .LBB22_963
.LBB22_959:
	s_or_saveexec_b64 s[8:9], s[8:9]
	v_mov_b32_e32 v1, 0x7f800001
	s_xor_b64 exec, exec, s[8:9]
	s_cbranch_execz .LBB22_940
.LBB22_960:
	v_cmp_ne_u16_e32 vcc, 0, v4
	s_andn2_b64 s[6:7], s[6:7], exec
	s_and_b64 s[10:11], vcc, exec
	v_mov_b32_e32 v1, 0
	s_or_b64 s[6:7], s[6:7], s[10:11]
	s_or_b64 exec, exec, s[8:9]
	s_and_saveexec_b64 s[8:9], s[6:7]
	s_cbranch_execnz .LBB22_941
	s_branch .LBB22_942
.LBB22_961:
	s_mov_b64 s[4:5], -1
                                        ; implicit-def: $vgpr1
.LBB22_962:
	s_mov_b64 s[10:11], 0
.LBB22_963:
	s_and_b64 vcc, exec, s[10:11]
	s_cbranch_vccz .LBB22_965
; %bb.964:
	s_cmp_lg_u32 s14, 11
	s_cselect_b64 s[10:11], -1, 0
	s_andn2_b64 s[4:5], s[4:5], exec
	s_and_b64 s[10:11], s[10:11], exec
	s_mov_b64 s[6:7], -1
	s_or_b64 s[4:5], s[4:5], s[10:11]
.LBB22_965:
	s_mov_b64 s[10:11], 0
.LBB22_966:
	s_andn2_b64 s[12:13], s[2:3], exec
	s_and_b64 s[4:5], s[4:5], exec
	s_and_b64 s[8:9], s[8:9], exec
	;; [unrolled: 1-line block ×4, first 2 shown]
	s_or_b64 s[12:13], s[12:13], s[4:5]
.LBB22_967:
	s_or_b64 exec, exec, s[70:71]
	s_and_b64 s[4:5], s[6:7], exec
	s_andn2_b64 s[2:3], s[2:3], exec
	s_and_b64 s[6:7], s[12:13], exec
	s_and_b64 s[8:9], s[8:9], exec
	;; [unrolled: 1-line block ×3, first 2 shown]
	s_or_b64 s[2:3], s[2:3], s[6:7]
.LBB22_968:
	s_or_b64 exec, exec, s[66:67]
	s_andn2_b64 s[6:7], s[62:63], exec
	s_and_b64 s[12:13], s[68:69], exec
	s_or_b64 s[62:63], s[6:7], s[12:13]
	s_and_b64 s[6:7], s[10:11], exec
	s_andn2_b64 s[10:11], s[60:61], exec
	s_and_b64 s[2:3], s[2:3], exec
	s_and_b64 s[8:9], s[8:9], exec
	s_and_b64 s[4:5], s[4:5], exec
	s_or_b64 s[60:61], s[10:11], s[2:3]
.LBB22_969:
	s_or_b64 exec, exec, s[64:65]
	s_andn2_b64 s[2:3], s[54:55], exec
	s_and_b64 s[10:11], s[62:63], exec
	s_or_b64 s[54:55], s[2:3], s[10:11]
	s_and_b64 s[2:3], s[8:9], exec
	s_and_b64 s[62:63], s[4:5], exec
	s_andn2_b64 s[4:5], s[56:57], exec
	s_and_b64 s[8:9], s[60:61], exec
	s_and_b64 s[6:7], s[6:7], exec
	s_or_b64 s[56:57], s[4:5], s[8:9]
	s_or_b64 exec, exec, s[58:59]
	s_mov_b64 s[8:9], 0
	s_and_saveexec_b64 s[4:5], s[56:57]
	s_cbranch_execz .LBB22_292
.LBB22_970:
	s_mov_b64 s[8:9], exec
	s_andn2_b64 s[62:63], s[62:63], exec
	s_trap 2
	s_or_b64 exec, exec, s[4:5]
	s_and_saveexec_b64 s[4:5], s[62:63]
	s_xor_b64 s[4:5], exec, s[4:5]
	s_cbranch_execnz .LBB22_293
.LBB22_971:
	s_or_b64 exec, exec, s[4:5]
	s_and_saveexec_b64 s[4:5], s[6:7]
	s_cbranch_execz .LBB22_1017
.LBB22_972:
	s_sext_i32_i16 s6, s74
	s_cmp_lt_i32 s6, 5
	s_cbranch_scc1 .LBB22_977
; %bb.973:
	s_cmp_lt_i32 s6, 8
	s_cbranch_scc1 .LBB22_978
; %bb.974:
	;; [unrolled: 3-line block ×3, first 2 shown]
	s_cmp_gt_i32 s6, 9
	s_cbranch_scc0 .LBB22_980
; %bb.976:
	global_load_dwordx2 v[4:5], v[2:3], off
	s_mov_b64 s[6:7], 0
	s_waitcnt vmcnt(0)
	v_cvt_f32_f64_e32 v1, v[4:5]
	s_branch .LBB22_981
.LBB22_977:
                                        ; implicit-def: $vgpr1
	s_branch .LBB22_998
.LBB22_978:
                                        ; implicit-def: $vgpr1
	s_branch .LBB22_987
.LBB22_979:
	s_mov_b64 s[6:7], -1
                                        ; implicit-def: $vgpr1
	s_branch .LBB22_984
.LBB22_980:
	s_mov_b64 s[6:7], -1
                                        ; implicit-def: $vgpr1
.LBB22_981:
	s_andn2_b64 vcc, exec, s[6:7]
	s_cbranch_vccnz .LBB22_983
; %bb.982:
	global_load_dword v1, v[2:3], off
.LBB22_983:
	s_mov_b64 s[6:7], 0
.LBB22_984:
	s_andn2_b64 vcc, exec, s[6:7]
	s_cbranch_vccnz .LBB22_986
; %bb.985:
	global_load_dword v1, v[2:3], off
	s_waitcnt vmcnt(0)
	v_cvt_f32_f16_e32 v1, v1
.LBB22_986:
	s_cbranch_execnz .LBB22_997
.LBB22_987:
	s_sext_i32_i16 s6, s74
	s_cmp_lt_i32 s6, 6
	s_cbranch_scc1 .LBB22_990
; %bb.988:
	s_cmp_gt_i32 s6, 6
	s_cbranch_scc0 .LBB22_991
; %bb.989:
	global_load_dwordx2 v[4:5], v[2:3], off
	s_mov_b64 s[6:7], 0
	s_waitcnt vmcnt(0)
	v_cvt_f32_f64_e32 v1, v[4:5]
	s_branch .LBB22_992
.LBB22_990:
	s_mov_b64 s[6:7], -1
                                        ; implicit-def: $vgpr1
	s_branch .LBB22_995
.LBB22_991:
	s_mov_b64 s[6:7], -1
                                        ; implicit-def: $vgpr1
.LBB22_992:
	s_andn2_b64 vcc, exec, s[6:7]
	s_cbranch_vccnz .LBB22_994
; %bb.993:
	global_load_dword v1, v[2:3], off
.LBB22_994:
	s_mov_b64 s[6:7], 0
.LBB22_995:
	s_andn2_b64 vcc, exec, s[6:7]
	s_cbranch_vccnz .LBB22_997
; %bb.996:
	global_load_ushort v1, v[2:3], off
	s_waitcnt vmcnt(0)
	v_cvt_f32_f16_e32 v1, v1
.LBB22_997:
	s_cbranch_execnz .LBB22_1016
.LBB22_998:
	s_sext_i32_i16 s6, s74
	s_cmp_lt_i32 s6, 2
	s_cbranch_scc1 .LBB22_1002
; %bb.999:
	s_cmp_lt_i32 s6, 3
	s_cbranch_scc1 .LBB22_1003
; %bb.1000:
	s_cmp_gt_i32 s6, 3
	s_cbranch_scc0 .LBB22_1004
; %bb.1001:
	global_load_dwordx2 v[4:5], v[2:3], off
	s_mov_b64 s[6:7], 0
	s_waitcnt vmcnt(0)
	v_xor_b32_e32 v6, v4, v5
	v_ffbh_i32_e32 v1, v5
	v_ashrrev_i32_e32 v6, 31, v6
	v_add_u32_e32 v1, -1, v1
	v_add_u32_e32 v6, 32, v6
	v_min_u32_e32 v1, v1, v6
	v_lshlrev_b64 v[4:5], v1, v[4:5]
	v_min_u32_e32 v4, 1, v4
	v_or_b32_e32 v4, v5, v4
	v_cvt_f32_i32_e32 v4, v4
	v_sub_u32_e32 v1, 32, v1
	v_ldexp_f32 v1, v4, v1
	s_branch .LBB22_1005
.LBB22_1002:
                                        ; implicit-def: $vgpr1
	s_branch .LBB22_1011
.LBB22_1003:
	s_mov_b64 s[6:7], -1
                                        ; implicit-def: $vgpr1
	s_branch .LBB22_1008
.LBB22_1004:
	s_mov_b64 s[6:7], -1
                                        ; implicit-def: $vgpr1
.LBB22_1005:
	s_andn2_b64 vcc, exec, s[6:7]
	s_cbranch_vccnz .LBB22_1007
; %bb.1006:
	global_load_dword v1, v[2:3], off
	s_waitcnt vmcnt(0)
	v_cvt_f32_i32_e32 v1, v1
.LBB22_1007:
	s_mov_b64 s[6:7], 0
.LBB22_1008:
	s_andn2_b64 vcc, exec, s[6:7]
	s_cbranch_vccnz .LBB22_1010
; %bb.1009:
	global_load_sshort v1, v[2:3], off
	s_waitcnt vmcnt(0)
	v_cvt_f32_i32_e32 v1, v1
.LBB22_1010:
	s_cbranch_execnz .LBB22_1016
.LBB22_1011:
	s_sext_i32_i16 s6, s74
	s_cmp_gt_i32 s6, 0
	s_cbranch_scc0 .LBB22_1013
; %bb.1012:
	global_load_sbyte v1, v[2:3], off
	s_mov_b64 s[6:7], 0
	s_waitcnt vmcnt(0)
	v_cvt_f32_i32_e32 v1, v1
	s_branch .LBB22_1014
.LBB22_1013:
	s_mov_b64 s[6:7], -1
                                        ; implicit-def: $vgpr1
.LBB22_1014:
	s_andn2_b64 vcc, exec, s[6:7]
	s_cbranch_vccnz .LBB22_1016
; %bb.1015:
	global_load_ubyte v1, v[2:3], off
	s_waitcnt vmcnt(0)
	v_cvt_f32_ubyte0_e32 v1, v1
.LBB22_1016:
	s_or_b64 s[2:3], s[2:3], exec
.LBB22_1017:
	s_or_b64 exec, exec, s[4:5]
	s_mov_b64 s[6:7], 0
	s_mov_b64 s[4:5], 0
                                        ; implicit-def: $sgpr16
                                        ; implicit-def: $vgpr4_vgpr5
                                        ; implicit-def: $vgpr2
	s_and_saveexec_b64 s[10:11], s[2:3]
	s_cbranch_execz .LBB22_1027
; %bb.1018:
	s_mov_b32 s2, 0x40a00000
	s_waitcnt vmcnt(0)
	v_cmp_ge_f32_e32 vcc, s2, v1
                                        ; implicit-def: $vgpr2
	s_and_saveexec_b64 s[2:3], vcc
	s_xor_b64 s[4:5], exec, s[2:3]
	s_cbranch_execz .LBB22_1024
; %bb.1019:
	v_cmp_neq_f32_e32 vcc, 0, v1
	v_mov_b32_e32 v2, 0xff800000
	s_and_saveexec_b64 s[6:7], vcc
	s_cbranch_execz .LBB22_1023
; %bb.1020:
	v_cmp_nge_f32_e32 vcc, 0, v1
	v_mov_b32_e32 v2, 0x7fc00000
	s_and_saveexec_b64 s[12:13], vcc
	s_cbranch_execz .LBB22_1022
; %bb.1021:
	v_mul_f32_e32 v2, v1, v1
	v_mov_b32_e32 v3, 0x4414934d
	v_fmac_f32_e32 v3, 0, v2
	v_fmaak_f32 v3, v2, v3, 0x48660b06
	s_mov_b32 s2, 0x4e9695f3
	v_mul_f32_e32 v4, 0, v2
	v_mul_f32_e32 v5, v2, v3
	s_mov_b32 s3, 0x4c8c277d
	v_pk_add_f32 v[6:7], v[4:5], s[2:3]
	s_mov_b32 s2, 0xd316b96b
	s_mov_b32 s3, 0x508bc61d
	v_pk_fma_f32 v[6:7], v[2:3], v[6:7], s[2:3] op_sel_hi:[0,1,1]
	s_mov_b32 s2, 0x56d04aa6
	s_mov_b32 s3, 0x5461faf8
	v_pk_fma_f32 v[6:7], v[2:3], v[6:7], s[2:3] op_sel_hi:[0,1,1]
	;; [unrolled: 3-line block ×5, first 2 shown]
	v_div_scale_f32 v3, s[2:3], v7, v7, v6
	v_rcp_f32_e32 v8, v3
	s_mov_b32 s2, 0xce5691e2
	s_mov_b32 s3, 0x548a37dc
	v_fma_f32 v5, -v3, v8, 1.0
	v_fmac_f32_e32 v8, v5, v8
	v_div_scale_f32 v5, vcc, v6, v7, v6
	v_mul_f32_e32 v9, v5, v8
	v_fma_f32 v10, -v3, v9, v5
	v_fmac_f32_e32 v9, v10, v8
	v_fma_f32 v3, -v3, v9, v5
	v_mov_b32_e32 v5, 0x441b3589
	v_fmac_f32_e32 v5, 0, v2
	v_fmaak_f32 v5, v2, v5, 0x487af6d0
	v_fmaak_f32 v5, v2, v5, 0x4c9f4aa7
	;; [unrolled: 1-line block ×3, first 2 shown]
	v_mul_f32_e32 v5, v2, v5
	v_pk_add_f32 v[4:5], v[4:5], s[2:3]
	s_mov_b32 s2, 0x52d295d0
	s_mov_b32 s3, 0x58325852
	v_pk_fma_f32 v[4:5], v[2:3], v[4:5], s[2:3] op_sel_hi:[0,1,1]
	s_mov_b32 s2, 0xd6845497
	s_mov_b32 s3, 0x5b9f0600
	v_pk_fma_f32 v[4:5], v[2:3], v[4:5], s[2:3] op_sel_hi:[0,1,1]
	;; [unrolled: 3-line block ×3, first 2 shown]
	v_div_scale_f32 v10, s[2:3], v5, v5, v4
	v_rcp_f32_e32 v11, v10
	v_div_fmas_f32 v3, v3, v8, v9
	v_div_fixup_f32 v6, v3, v7, v6
	s_mov_b32 s2, 0xc244dfb3
	v_fma_f32 v3, -v10, v11, 1.0
	v_fmac_f32_e32 v11, v3, v11
	v_div_scale_f32 v3, vcc, v4, v5, v4
	v_mul_f32_e32 v7, v3, v11
	v_fma_f32 v8, -v10, v7, v3
	v_fmac_f32_e32 v7, v8, v11
	v_fma_f32 v3, -v10, v7, v3
	v_div_fmas_f32 v3, v3, v11, v7
	v_div_fixup_f32 v3, v3, v5, v4
	s_mov_b32 s3, 0xc16ae95a
	v_mul_f32_e32 v4, v1, v3
	v_pk_add_f32 v[2:3], v[2:3], s[2:3] op_sel_hi:[0,1]
	s_mov_b32 s2, 0x800000
	v_cmp_gt_f32_e32 vcc, s2, v1
	v_mul_f32_e32 v3, v3, v4
	v_mul_f32_e32 v2, v2, v3
	v_cndmask_b32_e64 v5, 0, 32, vcc
	v_ldexp_f32 v5, v1, v5
	v_log_f32_e32 v5, v5
	s_mov_b32 s2, 0x3f317217
	v_mov_b32_e32 v7, 0x41b17218
	v_cndmask_b32_e32 v7, 0, v7, vcc
	v_mul_f32_e32 v3, 0x3f317217, v5
	v_fma_f32 v3, v5, s2, -v3
	v_fmamk_f32 v3, v5, 0x3377d1cf, v3
	s_mov_b32 s2, 0x7f800000
	v_fmac_f32_e32 v3, 0x3f317217, v5
	v_cmp_lt_f32_e64 s[2:3], |v5|, s2
	s_nop 1
	v_cndmask_b32_e64 v3, v5, v3, s[2:3]
	v_div_scale_f32 v4, s[2:3], v1, v1, -1.0
	v_rcp_f32_e32 v5, v4
	v_sub_f32_e32 v3, v3, v7
	v_fma_f32 v7, -v4, v5, 1.0
	v_fmac_f32_e32 v5, v7, v5
	v_div_scale_f32 v7, vcc, -1.0, v1, -1.0
	v_mul_f32_e32 v8, v7, v5
	v_fma_f32 v9, -v4, v8, v7
	v_fmac_f32_e32 v8, v9, v5
	v_fma_f32 v4, -v4, v8, v7
	v_div_fmas_f32 v4, v4, v5, v8
	v_div_fixup_f32 v4, v4, v1, -1.0
	v_fmac_f32_e32 v4, v3, v2
	v_mul_f32_e32 v2, 0x3f22f983, v4
	v_fmac_f32_e32 v2, v1, v6
.LBB22_1022:
	s_or_b64 exec, exec, s[12:13]
.LBB22_1023:
	s_or_b64 exec, exec, s[6:7]
                                        ; implicit-def: $vgpr1
.LBB22_1024:
	s_andn2_saveexec_b64 s[12:13], s[4:5]
	s_cbranch_execz .LBB22_1037
; %bb.1025:
	v_add_f32_e32 v2, 0xc016cbe4, v1
	s_brev_b32 s2, 18
	v_and_b32_e32 v3, 0x7fffffff, v2
	v_cmp_nlt_f32_e64 s[14:15], |v2|, s2
                                        ; implicit-def: $vgpr4
                                        ; implicit-def: $vgpr5
	s_and_saveexec_b64 s[2:3], s[14:15]
	s_xor_b64 s[16:17], exec, s[2:3]
	s_cbranch_execz .LBB22_1030
; %bb.1026:
	v_lshrrev_b32_e32 v4, 23, v3
	v_add_u32_e32 v4, 0xffffff88, v4
	v_not_b32_e32 v5, 63
	v_cmp_lt_u32_e32 vcc, 63, v4
	s_mov_b32 s6, 0xfe5163ab
	v_mov_b32_e32 v7, 0
	v_cndmask_b32_e32 v5, 0, v5, vcc
	v_add_u32_e32 v4, v5, v4
	v_not_b32_e32 v5, 31
	v_cmp_lt_u32_e64 s[2:3], 31, v4
	s_nop 1
	v_cndmask_b32_e64 v6, 0, v5, s[2:3]
	v_add_u32_e32 v4, v6, v4
	v_cmp_lt_u32_e64 s[4:5], 31, v4
	s_nop 1
	v_cndmask_b32_e64 v5, 0, v5, s[4:5]
	v_add_u32_e32 v18, v5, v4
	v_and_b32_e32 v4, 0x7fffff, v3
	v_or_b32_e32 v19, 0x800000, v4
	v_mad_u64_u32 v[4:5], s[6:7], v19, s6, 0
	v_mov_b32_e32 v6, v5
	s_mov_b32 s6, 0x3c439041
	v_mad_u64_u32 v[8:9], s[6:7], v19, s6, v[6:7]
	v_mov_b32_e32 v6, v9
	s_mov_b32 s6, 0xdb629599
	;; [unrolled: 3-line block ×6, first 2 shown]
	v_mad_u64_u32 v[6:7], s[6:7], v19, s6, v[6:7]
	v_cndmask_b32_e32 v5, v16, v12, vcc
	v_cndmask_b32_e32 v6, v6, v14, vcc
	;; [unrolled: 1-line block ×3, first 2 shown]
	v_cndmask_b32_e64 v9, v6, v5, s[2:3]
	v_cndmask_b32_e64 v6, v7, v6, s[2:3]
	v_cndmask_b32_e32 v7, v14, v10, vcc
	v_cndmask_b32_e64 v5, v5, v7, s[2:3]
	v_cndmask_b32_e32 v8, v12, v8, vcc
	v_cndmask_b32_e64 v6, v6, v9, s[4:5]
	v_cndmask_b32_e64 v9, v9, v5, s[4:5]
	v_sub_u32_e32 v11, 32, v18
	v_cndmask_b32_e64 v7, v7, v8, s[2:3]
	v_alignbit_b32 v13, v6, v9, v11
	v_cmp_eq_u32_e64 s[6:7], 0, v18
	v_cndmask_b32_e64 v5, v5, v7, s[4:5]
	v_alignbit_b32 v12, v9, v5, v11
	v_cndmask_b32_e64 v6, v13, v6, s[6:7]
	v_cndmask_b32_e32 v4, v10, v4, vcc
	v_cndmask_b32_e64 v9, v12, v9, s[6:7]
	v_bfe_u32 v14, v6, 29, 1
	v_cndmask_b32_e64 v4, v8, v4, s[2:3]
	v_alignbit_b32 v12, v6, v9, 30
	v_sub_u32_e32 v15, 0, v14
	v_cndmask_b32_e64 v4, v7, v4, s[4:5]
	v_xor_b32_e32 v12, v12, v15
	v_alignbit_b32 v7, v5, v4, v11
	v_cndmask_b32_e64 v5, v7, v5, s[6:7]
	v_ffbh_u32_e32 v8, v12
	v_alignbit_b32 v7, v9, v5, 30
	v_min_u32_e32 v8, 32, v8
	v_alignbit_b32 v4, v5, v4, 30
	v_xor_b32_e32 v7, v7, v15
	v_sub_u32_e32 v9, 31, v8
	v_xor_b32_e32 v4, v4, v15
	v_alignbit_b32 v10, v12, v7, v9
	v_alignbit_b32 v4, v7, v4, v9
	;; [unrolled: 1-line block ×3, first 2 shown]
	v_ffbh_u32_e32 v7, v5
	v_min_u32_e32 v7, 32, v7
	v_lshrrev_b32_e32 v13, 29, v6
	v_not_b32_e32 v9, v7
	v_alignbit_b32 v4, v5, v4, v9
	v_lshlrev_b32_e32 v5, 31, v13
	v_or_b32_e32 v9, 0x33000000, v5
	v_add_lshl_u32 v7, v7, v8, 23
	v_lshrrev_b32_e32 v4, 9, v4
	v_sub_u32_e32 v7, v9, v7
	v_or_b32_e32 v5, 0.5, v5
	v_lshlrev_b32_e32 v8, 23, v8
	v_or_b32_e32 v4, v7, v4
	v_lshrrev_b32_e32 v7, 9, v10
	v_sub_u32_e32 v5, v5, v8
	v_or_b32_e32 v5, v7, v5
	s_mov_b32 s2, 0x3fc90fda
	v_mul_f32_e32 v7, 0x3fc90fda, v5
	v_fma_f32 v8, v5, s2, -v7
	v_fmamk_f32 v5, v5, 0x33a22168, v8
	v_fmac_f32_e32 v5, 0x3fc90fda, v4
	v_lshrrev_b32_e32 v4, 30, v6
	v_add_f32_e32 v5, v7, v5
	v_add_u32_e32 v4, v14, v4
	s_andn2_saveexec_b64 s[2:3], s[16:17]
	s_cbranch_execz .LBB22_1032
	s_branch .LBB22_1031
.LBB22_1027:
	s_or_b64 exec, exec, s[10:11]
	s_and_saveexec_b64 s[2:3], s[54:55]
	s_cbranch_execnz .LBB22_1114
.LBB22_1028:
	s_or_b64 exec, exec, s[2:3]
	s_and_saveexec_b64 s[2:3], s[6:7]
	s_xor_b64 s[2:3], exec, s[2:3]
	s_cbranch_execz .LBB22_1115
.LBB22_1029:
	v_cmp_neq_f32_e32 vcc, 0, v2
	s_nop 1
	v_cndmask_b32_e64 v0, 0, 1, vcc
	global_store_byte v[4:5], v0, off
	s_or_b64 exec, exec, s[2:3]
	s_and_saveexec_b64 s[2:3], s[4:5]
	s_xor_b64 s[2:3], exec, s[2:3]
	s_cbranch_execz .LBB22_1153
	s_branch .LBB22_1116
.LBB22_1030:
	s_andn2_saveexec_b64 s[2:3], s[16:17]
	s_cbranch_execz .LBB22_1032
.LBB22_1031:
	s_mov_b32 s4, 0x3f22f983
	v_mul_f32_e64 v4, |v2|, s4
	v_rndne_f32_e32 v5, v4
	s_mov_b32 s4, 0xbfc90fda
	v_cvt_i32_f32_e32 v4, v5
	v_fma_f32 v6, v5, s4, |v2|
	v_fmamk_f32 v6, v5, 0xb3a22168, v6
	v_fmamk_f32 v5, v5, 0xa7c234c4, v6
.LBB22_1032:
	s_or_b64 exec, exec, s[2:3]
                                        ; implicit-def: $vgpr6
                                        ; implicit-def: $vgpr7
	s_and_saveexec_b64 s[2:3], s[14:15]
	s_xor_b64 s[14:15], exec, s[2:3]
	s_cbranch_execz .LBB22_1034
; %bb.1033:
	v_lshrrev_b32_e32 v6, 23, v3
	v_add_u32_e32 v6, 0xffffff88, v6
	v_not_b32_e32 v7, 63
	v_cmp_lt_u32_e32 vcc, 63, v6
	s_mov_b32 s6, 0xfe5163ab
	v_mov_b32_e32 v9, 0
	v_cndmask_b32_e32 v7, 0, v7, vcc
	v_add_u32_e32 v6, v7, v6
	v_not_b32_e32 v7, 31
	v_cmp_lt_u32_e64 s[2:3], 31, v6
	s_nop 1
	v_cndmask_b32_e64 v8, 0, v7, s[2:3]
	v_add_u32_e32 v6, v8, v6
	v_cmp_lt_u32_e64 s[4:5], 31, v6
	s_nop 1
	v_cndmask_b32_e64 v7, 0, v7, s[4:5]
	v_add_u32_e32 v20, v7, v6
	v_and_b32_e32 v6, 0x7fffff, v3
	v_or_b32_e32 v21, 0x800000, v6
	v_mad_u64_u32 v[6:7], s[6:7], v21, s6, 0
	v_mov_b32_e32 v8, v7
	s_mov_b32 s6, 0x3c439041
	v_mad_u64_u32 v[10:11], s[6:7], v21, s6, v[8:9]
	v_mov_b32_e32 v8, v11
	s_mov_b32 s6, 0xdb629599
	;; [unrolled: 3-line block ×6, first 2 shown]
	v_mad_u64_u32 v[8:9], s[6:7], v21, s6, v[8:9]
	v_cndmask_b32_e32 v7, v18, v14, vcc
	v_cndmask_b32_e32 v8, v8, v16, vcc
	;; [unrolled: 1-line block ×3, first 2 shown]
	v_cndmask_b32_e64 v11, v8, v7, s[2:3]
	v_cndmask_b32_e64 v8, v9, v8, s[2:3]
	v_cndmask_b32_e32 v9, v16, v12, vcc
	v_cndmask_b32_e64 v7, v7, v9, s[2:3]
	v_cndmask_b32_e32 v10, v14, v10, vcc
	v_cndmask_b32_e64 v8, v8, v11, s[4:5]
	v_cndmask_b32_e64 v11, v11, v7, s[4:5]
	v_sub_u32_e32 v13, 32, v20
	v_cndmask_b32_e64 v9, v9, v10, s[2:3]
	v_alignbit_b32 v15, v8, v11, v13
	v_cmp_eq_u32_e64 s[6:7], 0, v20
	v_cndmask_b32_e64 v7, v7, v9, s[4:5]
	v_alignbit_b32 v14, v11, v7, v13
	v_cndmask_b32_e64 v8, v15, v8, s[6:7]
	v_cndmask_b32_e32 v6, v12, v6, vcc
	v_cndmask_b32_e64 v11, v14, v11, s[6:7]
	v_bfe_u32 v16, v8, 29, 1
	v_cndmask_b32_e64 v6, v10, v6, s[2:3]
	v_alignbit_b32 v14, v8, v11, 30
	v_sub_u32_e32 v17, 0, v16
	v_cndmask_b32_e64 v6, v9, v6, s[4:5]
	v_xor_b32_e32 v14, v14, v17
	v_alignbit_b32 v9, v7, v6, v13
	v_cndmask_b32_e64 v7, v9, v7, s[6:7]
	v_ffbh_u32_e32 v10, v14
	v_alignbit_b32 v9, v11, v7, 30
	v_min_u32_e32 v10, 32, v10
	v_alignbit_b32 v6, v7, v6, 30
	v_xor_b32_e32 v9, v9, v17
	v_sub_u32_e32 v11, 31, v10
	v_xor_b32_e32 v6, v6, v17
	v_alignbit_b32 v12, v14, v9, v11
	v_alignbit_b32 v6, v9, v6, v11
	;; [unrolled: 1-line block ×3, first 2 shown]
	v_ffbh_u32_e32 v9, v7
	v_min_u32_e32 v9, 32, v9
	v_lshrrev_b32_e32 v15, 29, v8
	v_not_b32_e32 v11, v9
	v_alignbit_b32 v6, v7, v6, v11
	v_lshlrev_b32_e32 v7, 31, v15
	v_or_b32_e32 v11, 0x33000000, v7
	v_add_lshl_u32 v9, v9, v10, 23
	v_lshrrev_b32_e32 v6, 9, v6
	v_sub_u32_e32 v9, v11, v9
	v_or_b32_e32 v7, 0.5, v7
	v_lshlrev_b32_e32 v10, 23, v10
	v_or_b32_e32 v6, v9, v6
	v_lshrrev_b32_e32 v9, 9, v12
	v_sub_u32_e32 v7, v7, v10
	v_or_b32_e32 v7, v9, v7
	s_mov_b32 s2, 0x3fc90fda
	v_mul_f32_e32 v9, 0x3fc90fda, v7
	v_fma_f32 v10, v7, s2, -v9
	v_fmamk_f32 v7, v7, 0x33a22168, v10
	v_fmac_f32_e32 v7, 0x3fc90fda, v6
	v_lshrrev_b32_e32 v6, 30, v8
	v_add_f32_e32 v7, v9, v7
	v_add_u32_e32 v6, v16, v6
	s_andn2_saveexec_b64 s[2:3], s[14:15]
	s_cbranch_execnz .LBB22_1035
	s_branch .LBB22_1036
.LBB22_1034:
	s_andn2_saveexec_b64 s[2:3], s[14:15]
	s_cbranch_execz .LBB22_1036
.LBB22_1035:
	s_mov_b32 s4, 0x3f22f983
	v_mul_f32_e64 v6, |v2|, s4
	v_rndne_f32_e32 v7, v6
	s_mov_b32 s4, 0xbfc90fda
	v_cvt_i32_f32_e32 v6, v7
	v_fma_f32 v8, v7, s4, |v2|
	v_fmamk_f32 v8, v7, 0xb3a22168, v8
	v_fmamk_f32 v7, v7, 0xa7c234c4, v8
.LBB22_1036:
	s_or_b64 exec, exec, s[2:3]
	s_mov_b32 s4, 0x40a00000
	v_div_scale_f32 v8, s[2:3], v1, v1, s4
	v_rcp_f32_e32 v9, v8
	v_div_scale_f32 v10, vcc, s4, v1, s4
	v_mov_b32_e32 v13, 0x42947983
	v_fma_f32 v11, -v8, v9, 1.0
	v_fmac_f32_e32 v9, v11, v9
	v_mul_f32_e32 v11, v10, v9
	v_fma_f32 v12, -v8, v11, v10
	v_fmac_f32_e32 v11, v12, v9
	v_fma_f32 v8, -v8, v11, v10
	v_div_fmas_f32 v8, v8, v9, v11
	v_div_fixup_f32 v8, v8, v1, s4
	v_mul_f32_e32 v9, v8, v8
	v_mov_b32_e32 v10, 0x3a47c962
	v_mov_b32_e32 v11, 0x3a15c4d9
	v_fmac_f32_e32 v10, 0, v9
	v_fmac_f32_e32 v11, 0, v9
	v_fmaak_f32 v10, v9, v10, 0x3d95ca45
	v_fmaak_f32 v11, v9, v11, 0x3d8cfeeb
	;; [unrolled: 1-line block ×8, first 2 shown]
	v_mov_b32_e32 v12, 0x3d513fd3
	v_fmaak_f32 v10, v9, v10, 0x40a6dd51
	v_fmaak_f32 v11, v9, v11, 0x40a6b6ea
	v_fmac_f32_e32 v12, 0, v9
	v_fma_f32 v11, v9, v11, 1.0
	v_fmaak_f32 v12, v9, v12, 0x409f6dae
	v_fmac_f32_e32 v13, 0, v9
	v_fma_f32 v10, v9, v10, 1.0
	v_fmaak_f32 v12, v9, v12, 0x4297a5cd
	v_fmaak_f32 v13, v9, v13, 0x44840e5d
	v_div_scale_f32 v14, s[2:3], v11, v11, v10
	v_fmaak_f32 v12, v9, v12, 0x43b763ca
	v_fmaak_f32 v13, v9, v13, 0x459bd349
	v_rcp_f32_e32 v15, v14
	v_fmaak_f32 v12, v9, v12, 0x4431b6ce
	v_fmaak_f32 v13, v9, v13, 0x46156947
	;; [unrolled: 1-line block ×8, first 2 shown]
	v_fma_f32 v13, -v14, v15, 1.0
	v_fmac_f32_e32 v15, v13, v15
	v_div_scale_f32 v13, vcc, v10, v11, v10
	v_mul_f32_e32 v16, v13, v15
	v_fma_f32 v17, -v14, v16, v13
	v_fmac_f32_e32 v16, v17, v15
	v_fma_f32 v13, -v14, v16, v13
	v_div_fmas_f32 v13, v13, v15, v16
	v_div_fixup_f32 v10, v13, v11, v10
	v_mul_f32_e32 v11, v5, v5
	v_mov_b32_e32 v13, 0x3c0881c4
	v_fmamk_f32 v14, v11, 0xb94c1982, v13
	v_fmaak_f32 v14, v11, v14, 0xbe2aaa9d
	v_mul_f32_e32 v14, v11, v14
	v_fmac_f32_e32 v5, v5, v14
	v_mov_b32_e32 v14, 0xbab64f3b
	v_fmamk_f32 v16, v11, 0x37d75334, v14
	v_fmaak_f32 v16, v11, v16, 0x3d2aabf7
	v_fmaak_f32 v16, v11, v16, 0xbf000004
	v_fma_f32 v11, v11, v16, 1.0
	v_and_b32_e32 v16, 1, v4
	v_lshlrev_b32_e32 v4, 30, v4
	v_cmp_eq_u32_e32 vcc, 0, v16
	v_and_b32_e32 v4, 0x80000000, v4
	v_xor_b32_e32 v3, v3, v2
	v_cndmask_b32_e32 v5, v11, v5, vcc
	v_xor_b32_e32 v3, v3, v4
	v_div_scale_f32 v4, s[2:3], v9, v9, v12
	v_xor_b32_e32 v3, v3, v5
	v_rcp_f32_e32 v5, v4
	s_movk_i32 s5, 0x1f8
	v_mov_b32_e32 v11, 0x7fc00000
	v_cmp_class_f32_e64 s[2:3], v2, s5
	v_mov_b32_e32 v15, 0xbe2aaa9d
	v_mov_b32_e32 v17, 0x3d2aabf7
	v_cndmask_b32_e64 v2, v11, v3, s[2:3]
	v_fma_f32 v3, -v4, v5, 1.0
	v_fmac_f32_e32 v5, v3, v5
	v_div_scale_f32 v3, vcc, v12, v9, v12
	v_mul_f32_e32 v16, v3, v5
	v_fma_f32 v19, -v4, v16, v3
	v_fmac_f32_e32 v16, v19, v5
	v_fma_f32 v3, -v4, v16, v3
	v_mul_f32_e32 v4, v7, v7
	v_fmac_f32_e32 v13, 0xb94c1982, v4
	v_fmac_f32_e32 v15, v4, v13
	;; [unrolled: 1-line block ×3, first 2 shown]
	v_mov_b32_e32 v18, 0xbf000004
	v_div_fmas_f32 v3, v3, v5, v16
	v_mul_f32_e32 v5, v4, v15
	v_fmac_f32_e32 v17, v4, v14
	v_fmac_f32_e32 v7, v7, v5
	v_fmac_f32_e32 v18, v4, v17
	v_and_b32_e32 v5, 1, v6
	v_fma_f32 v4, v4, v18, 1.0
	v_cmp_eq_u32_e32 vcc, 0, v5
	s_brev_b32 s4, 1
	v_lshlrev_b32_e32 v5, 30, v6
	v_cndmask_b32_e64 v4, -v7, v4, vcc
	v_bitop3_b32 v4, v5, v4, s4 bitop3:0x6c
	v_cndmask_b32_e64 v4, v11, v4, s[2:3]
	s_mov_b32 s2, 0xf800000
	v_mul_f32_e32 v5, 0x4f800000, v1
	v_cmp_gt_f32_e32 vcc, s2, v1
	v_div_fixup_f32 v3, v3, v9, v12
	v_mul_f32_e32 v3, v8, v3
	v_cndmask_b32_e32 v1, v1, v5, vcc
	v_sqrt_f32_e32 v5, v1
	v_mul_f32_e32 v3, v3, v4
	v_fmac_f32_e32 v3, v10, v2
	v_mul_f32_e32 v2, 0x3f4c422a, v3
	v_add_u32_e32 v3, -1, v5
	v_fma_f32 v4, -v3, v5, v1
	v_cmp_ge_f32_e64 s[2:3], 0, v4
	v_add_u32_e32 v4, 1, v5
	s_nop 0
	v_cndmask_b32_e64 v3, v5, v3, s[2:3]
	v_fma_f32 v5, -v4, v5, v1
	v_cmp_lt_f32_e64 s[2:3], 0, v5
	s_nop 1
	v_cndmask_b32_e64 v3, v3, v4, s[2:3]
	v_mul_f32_e32 v4, 0x37800000, v3
	v_cndmask_b32_e32 v3, v3, v4, vcc
	v_mov_b32_e32 v4, 0x260
	v_cmp_class_f32_e32 vcc, v1, v4
	s_nop 1
	v_cndmask_b32_e32 v1, v3, v1, vcc
	v_div_scale_f32 v3, s[2:3], v1, v1, v2
	v_rcp_f32_e32 v4, v3
	s_nop 0
	v_fma_f32 v5, -v3, v4, 1.0
	v_fmac_f32_e32 v4, v5, v4
	v_div_scale_f32 v5, vcc, v2, v1, v2
	v_mul_f32_e32 v6, v5, v4
	v_fma_f32 v7, -v3, v6, v5
	v_fmac_f32_e32 v6, v7, v4
	v_fma_f32 v3, -v3, v6, v5
	v_div_fmas_f32 v3, v3, v4, v6
	v_div_fixup_f32 v2, v3, v1, v2
.LBB22_1037:
	s_or_b64 exec, exec, s[12:13]
	v_mov_b32_e32 v1, 0
	s_and_b32 s16, s73, 0xff
	s_cmp_lt_i32 s16, 11
	s_waitcnt lgkmcnt(0)
	v_lshl_add_u64 v[4:5], s[20:21], 0, v[0:1]
	s_cbranch_scc1 .LBB22_1054
; %bb.1038:
	s_and_b32 s17, 0xffff, s16
	s_mov_b64 s[6:7], -1
	s_cmp_gt_i32 s17, 25
	s_mov_b64 s[2:3], s[54:55]
	s_cbranch_scc0 .LBB22_1072
; %bb.1039:
	s_mov_b64 s[4:5], -1
	s_cmp_gt_i32 s17, 28
	s_mov_b64 s[2:3], s[54:55]
	s_cbranch_scc0 .LBB22_1056
; %bb.1040:
	s_cmp_gt_i32 s17, 43
	s_mov_b64 s[2:3], s[54:55]
	s_cbranch_scc0 .LBB22_1051
; %bb.1041:
	;; [unrolled: 4-line block ×3, first 2 shown]
	s_cmp_eq_u32 s17, 46
	s_mov_b64 s[2:3], -1
	s_cbranch_scc0 .LBB22_1044
; %bb.1043:
	v_bfe_u32 v0, v2, 16, 1
	s_movk_i32 s2, 0x7fff
	v_add3_u32 v0, v2, v0, s2
	v_cmp_o_f32_e32 vcc, v2, v2
	v_mov_b32_e32 v1, 0x7fc0
	s_mov_b64 s[2:3], 0
	v_cndmask_b32_sdwa v0, v1, v0, vcc dst_sel:DWORD dst_unused:UNUSED_PAD src0_sel:DWORD src1_sel:WORD_1
	global_store_dword v[4:5], v0, off
.LBB22_1044:
	s_mov_b64 s[4:5], 0
.LBB22_1045:
	s_and_b64 vcc, exec, s[4:5]
	s_cbranch_vccz .LBB22_1050
; %bb.1046:
	s_cmp_eq_u32 s17, 44
	s_mov_b64 s[2:3], -1
	s_cbranch_scc0 .LBB22_1050
; %bb.1047:
	v_bfe_u32 v0, v2, 23, 8
	s_movk_i32 s2, 0xff
	v_cmp_ne_u32_e32 vcc, s2, v0
	v_mov_b32_e32 v1, 0xff
	s_and_saveexec_b64 s[4:5], vcc
; %bb.1048:
	s_mov_b32 s2, 0x3fffff
	v_and_b32_e32 v3, 0x400000, v2
	v_and_or_b32 v0, v2, s2, v0
	v_cmp_ne_u32_e32 vcc, 0, v3
	v_cmp_ne_u32_e64 s[2:3], 0, v0
	s_and_b64 s[2:3], vcc, s[2:3]
	v_lshrrev_b32_e32 v1, 23, v2
	v_cndmask_b32_e64 v0, 0, 1, s[2:3]
	v_add_u32_e32 v1, v1, v0
; %bb.1049:
	s_or_b64 exec, exec, s[4:5]
	s_mov_b64 s[2:3], 0
	global_store_byte v[4:5], v1, off
.LBB22_1050:
	s_mov_b64 s[4:5], 0
.LBB22_1051:
	s_and_b64 vcc, exec, s[4:5]
	s_cbranch_vccz .LBB22_1055
; %bb.1052:
	s_cmp_eq_u32 s17, 29
	s_mov_b64 s[2:3], -1
	s_cbranch_scc0 .LBB22_1055
; %bb.1053:
	v_trunc_f32_e32 v0, v2
	v_mul_f32_e32 v1, 0x2f800000, v0
	v_floor_f32_e32 v3, v1
	v_fmamk_f32 v0, v3, 0xcf800000, v0
	v_cvt_u32_f32_e32 v1, v3
	v_cvt_u32_f32_e32 v0, v0
	s_mov_b64 s[2:3], 0
	s_mov_b64 s[4:5], 0
	global_store_dwordx2 v[4:5], v[0:1], off
	s_branch .LBB22_1056
.LBB22_1054:
	s_mov_b64 s[6:7], 0
	s_mov_b64 s[4:5], -1
	s_mov_b64 s[2:3], s[54:55]
	s_branch .LBB22_1113
.LBB22_1055:
	s_mov_b64 s[4:5], 0
.LBB22_1056:
	s_and_b64 vcc, exec, s[4:5]
	s_cbranch_vccz .LBB22_1071
; %bb.1057:
	s_cmp_lt_i32 s17, 27
	s_mov_b64 s[4:5], -1
	s_cbranch_scc1 .LBB22_1063
; %bb.1058:
	s_cmp_gt_i32 s17, 27
	s_cbranch_scc0 .LBB22_1060
; %bb.1059:
	v_cvt_u32_f32_e32 v0, v2
	s_mov_b64 s[4:5], 0
	global_store_dword v[4:5], v0, off
.LBB22_1060:
	s_andn2_b64 vcc, exec, s[4:5]
	s_cbranch_vccnz .LBB22_1062
; %bb.1061:
	v_cvt_u32_f32_e32 v0, v2
	global_store_short v[4:5], v0, off
.LBB22_1062:
	s_mov_b64 s[4:5], 0
.LBB22_1063:
	s_andn2_b64 vcc, exec, s[4:5]
	s_cbranch_vccnz .LBB22_1071
; %bb.1064:
	v_and_b32_e32 v0, 0x7fffffff, v2
	s_mov_b32 s4, 0x43800000
	v_cmp_gt_u32_e32 vcc, s4, v0
	v_mov_b32_e32 v1, 0x80
	s_and_saveexec_b64 s[4:5], vcc
	s_cbranch_execz .LBB22_1070
; %bb.1065:
	s_mov_b32 s6, 0x3bffffff
	v_cmp_lt_u32_e32 vcc, s6, v0
	s_mov_b64 s[6:7], 0
                                        ; implicit-def: $vgpr0
	s_and_saveexec_b64 s[12:13], vcc
	s_xor_b64 s[12:13], exec, s[12:13]
	s_cbranch_execz .LBB22_1224
; %bb.1066:
	v_bfe_u32 v0, v2, 20, 1
	s_mov_b32 s14, 0x487ffff
	v_add3_u32 v0, v2, v0, s14
	s_mov_b64 s[6:7], exec
	v_lshrrev_b32_e32 v0, 20, v0
	s_andn2_saveexec_b64 s[12:13], s[12:13]
	s_cbranch_execnz .LBB22_1225
.LBB22_1067:
	s_or_b64 exec, exec, s[12:13]
	v_mov_b32_e32 v1, 0
	s_and_saveexec_b64 s[12:13], s[6:7]
.LBB22_1068:
	v_lshrrev_b32_e32 v1, 24, v2
	s_movk_i32 s6, 0x80
	v_and_or_b32 v1, v1, s6, v0
.LBB22_1069:
	s_or_b64 exec, exec, s[12:13]
.LBB22_1070:
	s_or_b64 exec, exec, s[4:5]
	global_store_byte v[4:5], v1, off
.LBB22_1071:
	s_mov_b64 s[6:7], 0
.LBB22_1072:
	s_mov_b64 s[4:5], 0
	s_and_b64 vcc, exec, s[6:7]
	s_cbranch_vccz .LBB22_1112
; %bb.1073:
	s_cmp_gt_i32 s17, 22
	s_mov_b64 s[6:7], -1
	s_cbranch_scc0 .LBB22_1105
; %bb.1074:
	s_cmp_lt_i32 s17, 24
	s_cbranch_scc1 .LBB22_1094
; %bb.1075:
	s_cmp_gt_i32 s17, 24
	s_cbranch_scc0 .LBB22_1083
; %bb.1076:
	v_and_b32_e32 v0, 0x7fffffff, v2
	s_mov_b32 s6, 0x47800000
	v_cmp_gt_u32_e32 vcc, s6, v0
	v_mov_b32_e32 v1, 0x80
	s_and_saveexec_b64 s[6:7], vcc
	s_cbranch_execz .LBB22_1082
; %bb.1077:
	s_mov_b32 s12, 0x37ffffff
	v_cmp_lt_u32_e32 vcc, s12, v0
	s_mov_b64 s[12:13], 0
                                        ; implicit-def: $vgpr0
	s_and_saveexec_b64 s[14:15], vcc
	s_xor_b64 s[14:15], exec, s[14:15]
	s_cbranch_execz .LBB22_1365
; %bb.1078:
	v_bfe_u32 v0, v2, 21, 1
	s_mov_b32 s18, 0x88fffff
	v_add3_u32 v0, v2, v0, s18
	s_mov_b64 s[12:13], exec
	v_lshrrev_b32_e32 v0, 21, v0
	s_andn2_saveexec_b64 s[14:15], s[14:15]
	s_cbranch_execnz .LBB22_1366
.LBB22_1079:
	s_or_b64 exec, exec, s[14:15]
	v_mov_b32_e32 v1, 0
	s_and_saveexec_b64 s[14:15], s[12:13]
.LBB22_1080:
	v_lshrrev_b32_e32 v1, 24, v2
	s_movk_i32 s12, 0x80
	v_and_or_b32 v1, v1, s12, v0
.LBB22_1081:
	s_or_b64 exec, exec, s[14:15]
.LBB22_1082:
	s_or_b64 exec, exec, s[6:7]
	s_mov_b64 s[6:7], 0
	global_store_byte v[4:5], v1, off
.LBB22_1083:
	s_and_b64 vcc, exec, s[6:7]
	s_cbranch_vccz .LBB22_1093
; %bb.1084:
	v_and_b32_e32 v1, 0x7fffffff, v2
	s_mov_b32 s6, 0x43f00000
	v_cmp_gt_u32_e32 vcc, s6, v1
                                        ; implicit-def: $vgpr0
	s_and_saveexec_b64 s[6:7], vcc
	s_xor_b64 s[6:7], exec, s[6:7]
	s_cbranch_execz .LBB22_1090
; %bb.1085:
	s_mov_b32 s12, 0x3c7fffff
	v_cmp_lt_u32_e32 vcc, s12, v1
                                        ; implicit-def: $vgpr0
	s_and_saveexec_b64 s[12:13], vcc
	s_xor_b64 s[12:13], exec, s[12:13]
; %bb.1086:
	v_bfe_u32 v0, v2, 20, 1
	s_mov_b32 s14, 0x407ffff
	v_add3_u32 v0, v2, v0, s14
	v_lshrrev_b32_e32 v1, 20, v0
	v_and_b32_e32 v0, 0xff00000, v0
	s_mov_b32 s14, 0x7f00000
	v_mov_b32_e32 v3, 0x7e
	v_cmp_ne_u32_e32 vcc, s14, v0
	s_nop 1
	v_cndmask_b32_e32 v0, v3, v1, vcc
; %bb.1087:
	s_andn2_saveexec_b64 s[12:13], s[12:13]
; %bb.1088:
	s_mov_b32 s14, 0x46800000
	v_add_f32_e64 v0, |v2|, s14
; %bb.1089:
	s_or_b64 exec, exec, s[12:13]
                                        ; implicit-def: $vgpr1
.LBB22_1090:
	s_andn2_saveexec_b64 s[6:7], s[6:7]
; %bb.1091:
	s_mov_b32 s12, 0x7f800000
	v_mov_b32_e32 v0, 0x7e
	v_mov_b32_e32 v3, 0x7f
	v_cmp_lt_u32_e32 vcc, s12, v1
	s_nop 1
	v_cndmask_b32_e32 v0, v0, v3, vcc
; %bb.1092:
	s_or_b64 exec, exec, s[6:7]
	v_lshrrev_b32_e32 v1, 24, v2
	s_movk_i32 s6, 0x80
	v_and_or_b32 v0, v1, s6, v0
	global_store_byte v[4:5], v0, off
.LBB22_1093:
	s_mov_b64 s[6:7], 0
.LBB22_1094:
	s_andn2_b64 vcc, exec, s[6:7]
	s_cbranch_vccnz .LBB22_1104
; %bb.1095:
	v_and_b32_e32 v1, 0x7fffffff, v2
	s_mov_b32 s6, 0x47800000
	v_cmp_gt_u32_e32 vcc, s6, v1
                                        ; implicit-def: $vgpr0
	s_and_saveexec_b64 s[6:7], vcc
	s_xor_b64 s[6:7], exec, s[6:7]
	s_cbranch_execz .LBB22_1101
; %bb.1096:
	s_mov_b32 s12, 0x387fffff
	v_cmp_lt_u32_e32 vcc, s12, v1
                                        ; implicit-def: $vgpr0
	s_and_saveexec_b64 s[12:13], vcc
	s_xor_b64 s[12:13], exec, s[12:13]
; %bb.1097:
	v_bfe_u32 v0, v2, 21, 1
	s_mov_b32 s14, 0x80fffff
	v_add3_u32 v0, v2, v0, s14
	v_lshrrev_b32_e32 v0, 21, v0
; %bb.1098:
	s_andn2_saveexec_b64 s[12:13], s[12:13]
; %bb.1099:
	s_mov_b32 s14, 0x43000000
	v_add_f32_e64 v0, |v2|, s14
; %bb.1100:
	s_or_b64 exec, exec, s[12:13]
                                        ; implicit-def: $vgpr1
.LBB22_1101:
	s_andn2_saveexec_b64 s[6:7], s[6:7]
; %bb.1102:
	s_mov_b32 s12, 0x7f800000
	v_mov_b32_e32 v0, 0x7c
	v_mov_b32_e32 v3, 0x7f
	v_cmp_lt_u32_e32 vcc, s12, v1
	s_nop 1
	v_cndmask_b32_e32 v0, v0, v3, vcc
; %bb.1103:
	s_or_b64 exec, exec, s[6:7]
	v_lshrrev_b32_e32 v1, 24, v2
	s_movk_i32 s6, 0x80
	v_and_or_b32 v0, v1, s6, v0
	global_store_byte v[4:5], v0, off
.LBB22_1104:
	s_mov_b64 s[6:7], 0
.LBB22_1105:
	s_andn2_b64 vcc, exec, s[6:7]
	s_mov_b64 s[6:7], 0
	s_cbranch_vccnz .LBB22_1113
; %bb.1106:
	s_cmp_gt_i32 s17, 14
	s_mov_b64 s[12:13], -1
	s_cbranch_scc0 .LBB22_1110
; %bb.1107:
	s_cmp_eq_u32 s17, 15
	s_mov_b64 s[2:3], -1
	s_cbranch_scc0 .LBB22_1109
; %bb.1108:
	v_bfe_u32 v0, v2, 16, 1
	s_movk_i32 s2, 0x7fff
	v_add3_u32 v0, v2, v0, s2
	v_cmp_o_f32_e32 vcc, v2, v2
	v_mov_b32_e32 v1, 0x7fc0
	s_mov_b64 s[2:3], 0
	v_cndmask_b32_sdwa v0, v1, v0, vcc dst_sel:DWORD dst_unused:UNUSED_PAD src0_sel:DWORD src1_sel:WORD_1
	global_store_short v[4:5], v0, off
.LBB22_1109:
	s_mov_b64 s[12:13], 0
.LBB22_1110:
	s_and_b64 vcc, exec, s[12:13]
	s_cbranch_vccz .LBB22_1113
; %bb.1111:
	s_cmp_lg_u32 s17, 11
	s_cselect_b64 s[12:13], -1, 0
	s_andn2_b64 s[2:3], s[2:3], exec
	s_and_b64 s[12:13], s[12:13], exec
	s_mov_b64 s[6:7], -1
	s_or_b64 s[2:3], s[2:3], s[12:13]
	s_branch .LBB22_1113
.LBB22_1112:
	s_mov_b64 s[6:7], 0
.LBB22_1113:
	s_andn2_b64 s[12:13], s[54:55], exec
	s_and_b64 s[2:3], s[2:3], exec
	s_and_b64 s[4:5], s[4:5], exec
	;; [unrolled: 1-line block ×3, first 2 shown]
	s_or_b64 s[54:55], s[12:13], s[2:3]
	s_or_b64 exec, exec, s[10:11]
	s_and_saveexec_b64 s[2:3], s[54:55]
	s_cbranch_execz .LBB22_1028
.LBB22_1114:
	s_or_b64 s[8:9], s[8:9], exec
	s_andn2_b64 s[6:7], s[6:7], exec
	s_trap 2
	s_or_b64 exec, exec, s[2:3]
	s_and_saveexec_b64 s[2:3], s[6:7]
	s_xor_b64 s[2:3], exec, s[2:3]
	s_cbranch_execnz .LBB22_1029
.LBB22_1115:
	s_or_b64 exec, exec, s[2:3]
	s_and_saveexec_b64 s[2:3], s[4:5]
	s_xor_b64 s[2:3], exec, s[2:3]
	s_cbranch_execz .LBB22_1153
.LBB22_1116:
	s_sext_i32_i16 s6, s16
	s_cmp_lt_i32 s6, 5
	s_mov_b64 s[4:5], -1
	s_cbranch_scc1 .LBB22_1137
; %bb.1117:
	s_cmp_lt_i32 s6, 8
	s_cbranch_scc1 .LBB22_1127
; %bb.1118:
	s_cmp_lt_i32 s6, 9
	s_cbranch_scc1 .LBB22_1124
; %bb.1119:
	s_cmp_gt_i32 s6, 9
	s_cbranch_scc0 .LBB22_1121
; %bb.1120:
	v_mov_b32_e32 v8, 0
	v_cvt_f64_f32_e32 v[6:7], v2
	v_mov_b32_e32 v9, v8
	s_mov_b64 s[4:5], 0
	global_store_dwordx4 v[4:5], v[6:9], off
.LBB22_1121:
	s_andn2_b64 vcc, exec, s[4:5]
	s_cbranch_vccnz .LBB22_1123
; %bb.1122:
	v_mov_b32_e32 v3, 0
	global_store_dwordx2 v[4:5], v[2:3], off
.LBB22_1123:
	s_mov_b64 s[4:5], 0
.LBB22_1124:
	s_andn2_b64 vcc, exec, s[4:5]
	s_cbranch_vccnz .LBB22_1126
; %bb.1125:
	v_cvt_f16_f32_e32 v0, v2
	global_store_dword v[4:5], v0, off
.LBB22_1126:
	s_mov_b64 s[4:5], 0
.LBB22_1127:
	s_andn2_b64 vcc, exec, s[4:5]
	s_cbranch_vccnz .LBB22_1136
; %bb.1128:
	s_sext_i32_i16 s6, s16
	s_cmp_lt_i32 s6, 6
	s_mov_b64 s[4:5], -1
	s_cbranch_scc1 .LBB22_1134
; %bb.1129:
	s_cmp_gt_i32 s6, 6
	s_cbranch_scc0 .LBB22_1131
; %bb.1130:
	s_waitcnt vmcnt(0)
	v_cvt_f64_f32_e32 v[0:1], v2
	s_mov_b64 s[4:5], 0
	global_store_dwordx2 v[4:5], v[0:1], off
.LBB22_1131:
	s_andn2_b64 vcc, exec, s[4:5]
	s_cbranch_vccnz .LBB22_1133
; %bb.1132:
	global_store_dword v[4:5], v2, off
.LBB22_1133:
	s_mov_b64 s[4:5], 0
.LBB22_1134:
	s_andn2_b64 vcc, exec, s[4:5]
	s_cbranch_vccnz .LBB22_1136
; %bb.1135:
	v_cvt_f16_f32_e32 v0, v2
	global_store_short v[4:5], v0, off
.LBB22_1136:
	s_mov_b64 s[4:5], 0
.LBB22_1137:
	s_andn2_b64 vcc, exec, s[4:5]
	s_cbranch_vccnz .LBB22_1153
; %bb.1138:
	s_sext_i32_i16 s6, s16
	s_cmp_lt_i32 s6, 2
	s_mov_b64 s[4:5], -1
	s_cbranch_scc1 .LBB22_1148
; %bb.1139:
	s_cmp_lt_i32 s6, 3
	s_cbranch_scc1 .LBB22_1145
; %bb.1140:
	s_cmp_gt_i32 s6, 3
	s_cbranch_scc0 .LBB22_1142
; %bb.1141:
	v_trunc_f32_e32 v0, v2
	s_mov_b32 s4, 0x2f800000
	s_waitcnt vmcnt(0)
	v_mul_f32_e64 v1, |v0|, s4
	v_floor_f32_e32 v1, v1
	s_mov_b32 s4, 0xcf800000
	v_cvt_u32_f32_e32 v3, v1
	v_fma_f32 v1, v1, s4, |v0|
	v_cvt_u32_f32_e32 v1, v1
	v_ashrrev_i32_e32 v6, 31, v0
	v_xor_b32_e32 v3, v3, v6
	s_mov_b64 s[4:5], 0
	v_xor_b32_e32 v0, v1, v6
	v_sub_co_u32_e32 v0, vcc, v0, v6
	s_nop 1
	v_subb_co_u32_e32 v1, vcc, v3, v6, vcc
	global_store_dwordx2 v[4:5], v[0:1], off
.LBB22_1142:
	s_andn2_b64 vcc, exec, s[4:5]
	s_cbranch_vccnz .LBB22_1144
; %bb.1143:
	v_cvt_i32_f32_e32 v0, v2
	global_store_dword v[4:5], v0, off
.LBB22_1144:
	s_mov_b64 s[4:5], 0
.LBB22_1145:
	s_andn2_b64 vcc, exec, s[4:5]
	s_cbranch_vccnz .LBB22_1147
; %bb.1146:
	v_cvt_i32_f32_e32 v0, v2
	global_store_short v[4:5], v0, off
.LBB22_1147:
	s_mov_b64 s[4:5], 0
.LBB22_1148:
	s_andn2_b64 vcc, exec, s[4:5]
	s_cbranch_vccnz .LBB22_1153
; %bb.1149:
	s_sext_i32_i16 s4, s16
	s_cmp_gt_i32 s4, 0
	s_mov_b64 s[4:5], -1
	s_cbranch_scc0 .LBB22_1151
; %bb.1150:
	v_cvt_i32_f32_e32 v0, v2
	s_mov_b64 s[4:5], 0
	global_store_byte v[4:5], v0, off
.LBB22_1151:
	s_andn2_b64 vcc, exec, s[4:5]
	s_cbranch_vccnz .LBB22_1153
; %bb.1152:
	v_trunc_f32_e32 v0, v2
	s_mov_b32 s4, 0x2f800000
	s_waitcnt vmcnt(0)
	v_mul_f32_e64 v1, |v0|, s4
	v_floor_f32_e32 v1, v1
	s_mov_b32 s4, 0xcf800000
	v_fma_f32 v1, v1, s4, |v0|
	v_cvt_u32_f32_e32 v1, v1
	v_ashrrev_i32_e32 v0, 31, v0
	v_xor_b32_e32 v1, v1, v0
	v_sub_u32_e32 v0, v1, v0
	global_store_byte v[4:5], v0, off
.LBB22_1153:
	s_or_b64 exec, exec, s[2:3]
	s_waitcnt lgkmcnt(0)
	s_and_b64 s[24:25], s[8:9], exec
                                        ; implicit-def: $vgpr16
                                        ; implicit-def: $vgpr13
.LBB22_1154:
	s_or_saveexec_b64 s[26:27], s[44:45]
	s_mov_b64 s[4:5], 0
                                        ; implicit-def: $vgpr0_vgpr1
                                        ; implicit-def: $sgpr14
                                        ; implicit-def: $vgpr12
	s_xor_b64 exec, exec, s[26:27]
	s_cbranch_execz .LBB22_1783
; %bb.1155:
	v_cndmask_b32_e64 v0, 0, 1, s[42:43]
	v_cmp_ne_u32_e64 s[2:3], 1, v0
	s_andn2_b64 vcc, exec, s[42:43]
	s_cbranch_vccnz .LBB22_1161
; %bb.1156:
	s_cmp_lg_u32 s33, 0
	s_mov_b32 s36, 0
	s_cbranch_scc0 .LBB22_1162
; %bb.1157:
	s_min_u32 s37, s72, 15
	s_add_i32 s37, s37, 1
	s_cmp_eq_u32 s72, 2
	s_cbranch_scc1 .LBB22_1163
; %bb.1158:
	s_and_b32 s36, s37, 28
	s_add_u32 s28, s34, 0xc4
	s_addc_u32 s29, s35, 0
	s_mov_b32 s38, 0
	v_mov_b32_e32 v6, 0
	v_mov_b32_e32 v8, 0
	s_mov_b64 s[30:31], s[34:35]
	v_mov_b32_e32 v0, v13
.LBB22_1159:                            ; =>This Inner Loop Header: Depth=1
	s_load_dwordx8 s[12:19], s[30:31], 0x4
	s_load_dwordx4 s[20:23], s[30:31], 0x24
	s_load_dwordx8 s[4:11], s[28:29], 0x0
	s_add_u32 s30, s30, 48
	s_addc_u32 s31, s31, 0
	s_waitcnt vmcnt(0) lgkmcnt(0)
	v_mul_hi_u32 v1, s13, v0
	v_add_u32_e32 v1, v0, v1
	v_lshrrev_b32_e32 v1, s14, v1
	v_mul_lo_u32 v2, v1, s12
	v_mul_hi_u32 v3, s16, v1
	v_sub_u32_e32 v0, v0, v2
	v_add_u32_e32 v2, v1, v3
	v_lshrrev_b32_e32 v2, s17, v2
	v_mul_lo_u32 v4, v2, s15
	v_mul_hi_u32 v5, s19, v2
	v_sub_u32_e32 v1, v1, v4
	v_add_u32_e32 v4, v2, v5
	v_mul_lo_u32 v3, v0, s5
	v_mul_lo_u32 v0, v0, s4
	;; [unrolled: 1-line block ×4, first 2 shown]
	v_lshrrev_b32_e32 v4, s20, v4
	v_add3_u32 v1, v0, v6, v1
	v_add3_u32 v3, v3, v8, v5
	v_mul_lo_u32 v0, v4, s18
	v_mul_hi_u32 v5, s22, v4
	v_sub_u32_e32 v0, v2, v0
	v_add_u32_e32 v2, v4, v5
	v_mul_lo_u32 v5, v0, s8
	v_mul_lo_u32 v6, v0, s9
	v_lshrrev_b32_e32 v0, s23, v2
	s_add_i32 s38, s38, 4
	v_mul_lo_u32 v2, v0, s21
	s_add_u32 s28, s28, 32
	v_sub_u32_e32 v2, v4, v2
	s_addc_u32 s29, s29, 0
	v_mul_lo_u32 v4, v2, s10
	v_mul_lo_u32 v2, v2, s11
	s_cmp_lg_u32 s36, s38
	v_add3_u32 v8, v6, v3, v2
	v_add3_u32 v6, v5, v1, v4
	s_cbranch_scc1 .LBB22_1159
; %bb.1160:
	v_mov_b32_e32 v1, v8
	s_and_b32 s8, s37, 3
	s_cmp_eq_u32 s8, 0
	s_cbranch_scc0 .LBB22_1164
	s_branch .LBB22_1166
.LBB22_1161:
                                        ; implicit-def: $vgpr8
                                        ; implicit-def: $vgpr6
	s_branch .LBB22_1167
.LBB22_1162:
	v_mov_b32_e32 v8, 0
	v_mov_b32_e32 v6, 0
	s_branch .LBB22_1166
.LBB22_1163:
	v_mov_b32_e32 v6, 0
                                        ; implicit-def: $vgpr8
	s_waitcnt vmcnt(0)
	v_mov_b32_e32 v1, v6
	v_mov_b32_e32 v0, v13
	s_and_b32 s8, s37, 3
	s_cmp_eq_u32 s8, 0
	s_cbranch_scc1 .LBB22_1166
.LBB22_1164:
	s_lshl_b32 s4, s36, 3
	s_add_u32 s4, s34, s4
	s_addc_u32 s5, s35, 0
	s_add_u32 s4, s4, 0xc4
	s_addc_u32 s5, s5, 0
	s_mul_i32 s6, s36, 12
	s_add_u32 s6, s34, s6
	s_addc_u32 s7, s35, 0
.LBB22_1165:                            ; =>This Inner Loop Header: Depth=1
	s_load_dwordx2 s[10:11], s[6:7], 0x4
	s_load_dword s9, s[6:7], 0xc
	s_load_dwordx2 s[12:13], s[4:5], 0x0
	v_mov_b32_e32 v2, v1
	s_add_u32 s6, s6, 12
	s_waitcnt lgkmcnt(0)
	v_mul_hi_u32 v1, s11, v0
	v_add_u32_e32 v1, v0, v1
	v_lshrrev_b32_e32 v1, s9, v1
	s_addc_u32 s7, s7, 0
	v_mul_lo_u32 v3, v1, s10
	s_add_u32 s4, s4, 8
	v_sub_u32_e32 v3, v0, v3
	s_addc_u32 s5, s5, 0
	s_add_i32 s8, s8, -1
	v_mad_u64_u32 v[8:9], s[10:11], v3, s13, v[2:3]
	s_cmp_lg_u32 s8, 0
	v_mov_b32_e32 v0, v1
	v_mad_u64_u32 v[6:7], s[10:11], v3, s12, v[6:7]
	v_mov_b32_e32 v1, v8
	s_cbranch_scc1 .LBB22_1165
.LBB22_1166:
	s_cbranch_execnz .LBB22_1169
.LBB22_1167:
	s_load_dwordx4 s[4:7], s[34:35], 0x4
	s_load_dwordx2 s[8:9], s[34:35], 0xc4
	s_cmp_lt_u32 s33, 2
	s_waitcnt lgkmcnt(0)
	v_mul_hi_u32 v0, s5, v13
	v_add_u32_e32 v0, v13, v0
	v_lshrrev_b32_e32 v0, s6, v0
	s_waitcnt vmcnt(0)
	v_mul_lo_u32 v1, v0, s4
	v_sub_u32_e32 v1, v13, v1
	v_mul_lo_u32 v8, v1, s9
	v_mul_lo_u32 v6, v1, s8
	s_cbranch_scc1 .LBB22_1169
; %bb.1168:
	s_load_dwordx4 s[4:7], s[34:35], 0x10
	s_load_dwordx2 s[8:9], s[34:35], 0xcc
	s_waitcnt lgkmcnt(0)
	v_mul_hi_u32 v1, s5, v0
	v_add_u32_e32 v1, v0, v1
	v_lshrrev_b32_e32 v1, s6, v1
	v_mul_lo_u32 v1, v1, s4
	v_sub_u32_e32 v0, v0, v1
	v_mad_u64_u32 v[6:7], s[4:5], v0, s8, v[6:7]
	v_mad_u64_u32 v[8:9], s[4:5], v0, s9, v[8:9]
.LBB22_1169:
	s_and_b64 vcc, exec, s[2:3]
	v_add_u32_e32 v0, 0x80, v13
	s_cbranch_vccnz .LBB22_1175
; %bb.1170:
	s_cmp_lg_u32 s33, 0
	s_mov_b32 s36, 0
	s_cbranch_scc0 .LBB22_1176
; %bb.1171:
	s_min_u32 s37, s72, 15
	s_add_i32 s37, s37, 1
	s_cmp_eq_u32 s72, 2
	s_cbranch_scc1 .LBB22_1177
; %bb.1172:
	s_and_b32 s36, s37, 28
	s_add_u32 s28, s34, 0xc4
	s_addc_u32 s29, s35, 0
	s_mov_b32 s38, 0
	v_mov_b32_e32 v4, 0
	v_mov_b32_e32 v10, 0
	s_mov_b64 s[30:31], s[34:35]
	v_mov_b32_e32 v2, v0
.LBB22_1173:                            ; =>This Inner Loop Header: Depth=1
	s_load_dwordx8 s[12:19], s[30:31], 0x4
	s_load_dwordx4 s[20:23], s[30:31], 0x24
	s_load_dwordx8 s[4:11], s[28:29], 0x0
	s_add_u32 s30, s30, 48
	s_addc_u32 s31, s31, 0
	s_waitcnt vmcnt(0) lgkmcnt(0)
	v_mul_hi_u32 v1, s13, v2
	v_add_u32_e32 v1, v2, v1
	v_lshrrev_b32_e32 v1, s14, v1
	v_mul_lo_u32 v3, v1, s12
	v_mul_hi_u32 v5, s16, v1
	v_sub_u32_e32 v2, v2, v3
	v_add_u32_e32 v3, v1, v5
	v_lshrrev_b32_e32 v3, s17, v3
	v_mul_lo_u32 v7, v3, s15
	v_mul_hi_u32 v9, s19, v3
	v_sub_u32_e32 v1, v1, v7
	v_add_u32_e32 v7, v3, v9
	v_mul_lo_u32 v5, v2, s5
	v_mul_lo_u32 v2, v2, s4
	;; [unrolled: 1-line block ×4, first 2 shown]
	v_lshrrev_b32_e32 v7, s20, v7
	v_add3_u32 v1, v2, v4, v1
	v_add3_u32 v4, v5, v10, v9
	v_mul_lo_u32 v2, v7, s18
	v_mul_hi_u32 v5, s22, v7
	v_sub_u32_e32 v2, v3, v2
	v_add_u32_e32 v3, v7, v5
	v_mul_lo_u32 v5, v2, s8
	v_mul_lo_u32 v9, v2, s9
	v_lshrrev_b32_e32 v2, s23, v3
	s_add_i32 s38, s38, 4
	v_mul_lo_u32 v3, v2, s21
	s_add_u32 s28, s28, 32
	v_sub_u32_e32 v3, v7, v3
	s_addc_u32 s29, s29, 0
	v_mul_lo_u32 v7, v3, s10
	v_mul_lo_u32 v3, v3, s11
	s_cmp_lg_u32 s36, s38
	v_add3_u32 v10, v9, v4, v3
	v_add3_u32 v4, v5, v1, v7
	s_cbranch_scc1 .LBB22_1173
; %bb.1174:
	v_mov_b32_e32 v1, v10
	s_and_b32 s8, s37, 3
	s_cmp_eq_u32 s8, 0
	s_cbranch_scc0 .LBB22_1178
	s_branch .LBB22_1180
.LBB22_1175:
                                        ; implicit-def: $vgpr10
                                        ; implicit-def: $vgpr4
	s_branch .LBB22_1181
.LBB22_1176:
	v_mov_b32_e32 v10, 0
	v_mov_b32_e32 v4, 0
	s_branch .LBB22_1180
.LBB22_1177:
	v_mov_b32_e32 v4, 0
                                        ; implicit-def: $vgpr10
	s_waitcnt vmcnt(0)
	v_mov_b32_e32 v1, v4
	v_mov_b32_e32 v2, v0
	s_and_b32 s8, s37, 3
	s_cmp_eq_u32 s8, 0
	s_cbranch_scc1 .LBB22_1180
.LBB22_1178:
	s_lshl_b32 s4, s36, 3
	s_add_u32 s4, s34, s4
	s_addc_u32 s5, s35, 0
	s_add_u32 s4, s4, 0xc4
	s_addc_u32 s5, s5, 0
	s_mul_i32 s6, s36, 12
	s_add_u32 s6, s34, s6
	s_addc_u32 s7, s35, 0
.LBB22_1179:                            ; =>This Inner Loop Header: Depth=1
	s_load_dwordx2 s[10:11], s[6:7], 0x4
	s_load_dword s9, s[6:7], 0xc
	s_load_dwordx2 s[12:13], s[4:5], 0x0
	v_mov_b32_e32 v10, v1
	s_add_u32 s6, s6, 12
	s_waitcnt lgkmcnt(0)
	v_mul_hi_u32 v1, s11, v2
	v_add_u32_e32 v1, v2, v1
	v_lshrrev_b32_e32 v1, s9, v1
	s_addc_u32 s7, s7, 0
	v_mul_lo_u32 v3, v1, s10
	s_add_u32 s4, s4, 8
	v_sub_u32_e32 v3, v2, v3
	s_addc_u32 s5, s5, 0
	s_add_i32 s8, s8, -1
	v_mad_u64_u32 v[10:11], s[10:11], v3, s13, v[10:11]
	s_cmp_lg_u32 s8, 0
	v_mov_b32_e32 v2, v1
	v_mad_u64_u32 v[4:5], s[10:11], v3, s12, v[4:5]
	v_mov_b32_e32 v1, v10
	s_cbranch_scc1 .LBB22_1179
.LBB22_1180:
	s_cbranch_execnz .LBB22_1183
.LBB22_1181:
	s_load_dwordx4 s[4:7], s[34:35], 0x4
	s_load_dwordx2 s[8:9], s[34:35], 0xc4
	s_cmp_lt_u32 s33, 2
	s_waitcnt vmcnt(0) lgkmcnt(0)
	v_mul_hi_u32 v1, s5, v0
	v_add_u32_e32 v1, v0, v1
	v_lshrrev_b32_e32 v1, s6, v1
	v_mul_lo_u32 v2, v1, s4
	v_sub_u32_e32 v0, v0, v2
	v_mul_lo_u32 v10, v0, s9
	v_mul_lo_u32 v4, v0, s8
	s_cbranch_scc1 .LBB22_1183
; %bb.1182:
	s_load_dwordx4 s[4:7], s[34:35], 0x10
	s_load_dwordx2 s[8:9], s[34:35], 0xcc
	s_waitcnt lgkmcnt(0)
	v_mul_hi_u32 v0, s5, v1
	v_add_u32_e32 v0, v1, v0
	v_lshrrev_b32_e32 v0, s6, v0
	v_mul_lo_u32 v0, v0, s4
	v_sub_u32_e32 v0, v1, v0
	v_mad_u64_u32 v[4:5], s[4:5], v0, s8, v[4:5]
	v_mad_u64_u32 v[10:11], s[4:5], v0, s9, v[10:11]
.LBB22_1183:
	s_and_b64 vcc, exec, s[2:3]
	v_add_u32_e32 v0, 0x100, v13
	s_cbranch_vccnz .LBB22_1189
; %bb.1184:
	s_cmp_lg_u32 s33, 0
	s_mov_b32 s36, 0
	s_cbranch_scc0 .LBB22_1190
; %bb.1185:
	s_min_u32 s37, s72, 15
	s_add_i32 s37, s37, 1
	s_cmp_eq_u32 s72, 2
	s_cbranch_scc1 .LBB22_1191
; %bb.1186:
	s_and_b32 s36, s37, 28
	s_add_u32 s28, s34, 0xc4
	s_addc_u32 s29, s35, 0
	s_mov_b32 s38, 0
	v_mov_b32_e32 v2, 0
	v_mov_b32_e32 v14, 0
	s_mov_b64 s[30:31], s[34:35]
	v_mov_b32_e32 v5, v0
.LBB22_1187:                            ; =>This Inner Loop Header: Depth=1
	s_load_dwordx8 s[12:19], s[30:31], 0x4
	s_load_dwordx4 s[20:23], s[30:31], 0x24
	s_load_dwordx8 s[4:11], s[28:29], 0x0
	s_add_u32 s30, s30, 48
	s_addc_u32 s31, s31, 0
	s_waitcnt vmcnt(0) lgkmcnt(0)
	v_mul_hi_u32 v1, s13, v5
	v_add_u32_e32 v1, v5, v1
	v_lshrrev_b32_e32 v1, s14, v1
	v_mul_lo_u32 v3, v1, s12
	v_mul_hi_u32 v7, s16, v1
	v_sub_u32_e32 v3, v5, v3
	v_add_u32_e32 v5, v1, v7
	v_lshrrev_b32_e32 v5, s17, v5
	v_mul_lo_u32 v9, v5, s15
	v_mul_hi_u32 v11, s19, v5
	v_sub_u32_e32 v1, v1, v9
	v_add_u32_e32 v9, v5, v11
	v_mul_lo_u32 v7, v3, s5
	v_mul_lo_u32 v3, v3, s4
	;; [unrolled: 1-line block ×4, first 2 shown]
	v_lshrrev_b32_e32 v9, s20, v9
	v_add3_u32 v1, v3, v2, v1
	v_add3_u32 v2, v7, v14, v11
	v_mul_lo_u32 v3, v9, s18
	v_mul_hi_u32 v7, s22, v9
	v_sub_u32_e32 v3, v5, v3
	v_add_u32_e32 v5, v9, v7
	v_lshrrev_b32_e32 v5, s23, v5
	s_add_i32 s38, s38, 4
	v_mul_lo_u32 v11, v5, s21
	s_add_u32 s28, s28, 32
	v_sub_u32_e32 v9, v9, v11
	s_addc_u32 s29, s29, 0
	v_mul_lo_u32 v7, v3, s8
	v_mul_lo_u32 v3, v3, s9
	;; [unrolled: 1-line block ×4, first 2 shown]
	s_cmp_lg_u32 s36, s38
	v_add3_u32 v14, v3, v2, v9
	v_add3_u32 v2, v7, v1, v11
	s_cbranch_scc1 .LBB22_1187
; %bb.1188:
	v_mov_b32_e32 v1, v14
	s_and_b32 s8, s37, 3
	s_cmp_eq_u32 s8, 0
	s_cbranch_scc0 .LBB22_1192
	s_branch .LBB22_1194
.LBB22_1189:
                                        ; implicit-def: $vgpr14
                                        ; implicit-def: $vgpr2
	s_branch .LBB22_1195
.LBB22_1190:
	v_mov_b32_e32 v14, 0
	v_mov_b32_e32 v2, 0
	s_branch .LBB22_1194
.LBB22_1191:
	v_mov_b32_e32 v2, 0
                                        ; implicit-def: $vgpr14
	s_waitcnt vmcnt(0)
	v_mov_b32_e32 v1, v2
	v_mov_b32_e32 v5, v0
	s_and_b32 s8, s37, 3
	s_cmp_eq_u32 s8, 0
	s_cbranch_scc1 .LBB22_1194
.LBB22_1192:
	s_lshl_b32 s4, s36, 3
	s_add_u32 s4, s34, s4
	s_addc_u32 s5, s35, 0
	s_add_u32 s4, s4, 0xc4
	s_addc_u32 s5, s5, 0
	s_mul_i32 s6, s36, 12
	s_add_u32 s6, s34, s6
	s_addc_u32 s7, s35, 0
.LBB22_1193:                            ; =>This Inner Loop Header: Depth=1
	s_load_dwordx2 s[10:11], s[6:7], 0x4
	s_load_dword s9, s[6:7], 0xc
	s_load_dwordx2 s[12:13], s[4:5], 0x0
	v_mov_b32_e32 v12, v1
	s_add_u32 s6, s6, 12
	s_waitcnt lgkmcnt(0)
	v_mul_hi_u32 v1, s11, v5
	v_add_u32_e32 v1, v5, v1
	v_lshrrev_b32_e32 v1, s9, v1
	s_addc_u32 s7, s7, 0
	v_mul_lo_u32 v3, v1, s10
	s_add_u32 s4, s4, 8
	v_sub_u32_e32 v3, v5, v3
	s_addc_u32 s5, s5, 0
	s_add_i32 s8, s8, -1
	v_mad_u64_u32 v[14:15], s[10:11], v3, s13, v[12:13]
	s_cmp_lg_u32 s8, 0
	v_mov_b32_e32 v5, v1
	v_mad_u64_u32 v[2:3], s[10:11], v3, s12, v[2:3]
	v_mov_b32_e32 v1, v14
	s_cbranch_scc1 .LBB22_1193
.LBB22_1194:
	s_cbranch_execnz .LBB22_1197
.LBB22_1195:
	s_load_dwordx4 s[4:7], s[34:35], 0x4
	s_load_dwordx2 s[8:9], s[34:35], 0xc4
	s_cmp_lt_u32 s33, 2
	s_waitcnt vmcnt(0) lgkmcnt(0)
	v_mul_hi_u32 v1, s5, v0
	v_add_u32_e32 v1, v0, v1
	v_lshrrev_b32_e32 v1, s6, v1
	v_mul_lo_u32 v2, v1, s4
	v_sub_u32_e32 v0, v0, v2
	v_mul_lo_u32 v14, v0, s9
	v_mul_lo_u32 v2, v0, s8
	s_cbranch_scc1 .LBB22_1197
; %bb.1196:
	s_load_dwordx4 s[4:7], s[34:35], 0x10
	s_load_dwordx2 s[8:9], s[34:35], 0xcc
	s_waitcnt lgkmcnt(0)
	v_mul_hi_u32 v0, s5, v1
	v_add_u32_e32 v0, v1, v0
	v_lshrrev_b32_e32 v0, s6, v0
	v_mul_lo_u32 v0, v0, s4
	v_sub_u32_e32 v0, v1, v0
	v_mad_u64_u32 v[2:3], s[4:5], v0, s8, v[2:3]
	v_mad_u64_u32 v[14:15], s[4:5], v0, s9, v[14:15]
.LBB22_1197:
	s_and_b64 vcc, exec, s[2:3]
	s_cbranch_vccnz .LBB22_1203
; %bb.1198:
	s_cmp_lg_u32 s33, 0
	s_mov_b32 s30, 0
	s_cbranch_scc0 .LBB22_1204
; %bb.1199:
	s_min_u32 s31, s72, 15
	s_add_i32 s31, s31, 1
	s_cmp_eq_u32 s72, 2
	s_cbranch_scc1 .LBB22_1205
; %bb.1200:
	s_and_b32 s30, s31, 28
	s_add_u32 s2, s34, 0xc4
	s_addc_u32 s3, s35, 0
	s_mov_b32 s36, 0
	v_mov_b32_e32 v0, 0
	v_mov_b32_e32 v12, 0
	s_mov_b64 s[28:29], s[34:35]
	v_mov_b32_e32 v3, v16
.LBB22_1201:                            ; =>This Inner Loop Header: Depth=1
	s_load_dwordx8 s[12:19], s[28:29], 0x4
	s_load_dwordx4 s[20:23], s[28:29], 0x24
	s_load_dwordx8 s[4:11], s[2:3], 0x0
	s_add_u32 s28, s28, 48
	s_addc_u32 s29, s29, 0
	s_waitcnt vmcnt(0) lgkmcnt(0)
	v_mul_hi_u32 v1, s13, v3
	v_add_u32_e32 v1, v3, v1
	v_lshrrev_b32_e32 v1, s14, v1
	v_mul_lo_u32 v5, v1, s12
	v_mul_hi_u32 v7, s16, v1
	v_sub_u32_e32 v3, v3, v5
	v_add_u32_e32 v5, v1, v7
	v_lshrrev_b32_e32 v5, s17, v5
	v_mul_lo_u32 v9, v5, s15
	v_mul_hi_u32 v11, s19, v5
	v_sub_u32_e32 v1, v1, v9
	v_add_u32_e32 v9, v5, v11
	v_mul_lo_u32 v7, v3, s5
	v_mul_lo_u32 v3, v3, s4
	;; [unrolled: 1-line block ×4, first 2 shown]
	v_lshrrev_b32_e32 v9, s20, v9
	v_add3_u32 v0, v3, v0, v1
	v_add3_u32 v1, v7, v12, v11
	v_mul_lo_u32 v3, v9, s18
	v_mul_hi_u32 v7, s22, v9
	v_sub_u32_e32 v3, v5, v3
	v_add_u32_e32 v5, v9, v7
	v_mul_lo_u32 v7, v3, s8
	v_mul_lo_u32 v11, v3, s9
	v_lshrrev_b32_e32 v3, s23, v5
	s_add_i32 s36, s36, 4
	v_mul_lo_u32 v5, v3, s21
	s_add_u32 s2, s2, 32
	v_sub_u32_e32 v5, v9, v5
	s_addc_u32 s3, s3, 0
	v_mul_lo_u32 v9, v5, s10
	v_mul_lo_u32 v5, v5, s11
	s_cmp_lg_u32 s30, s36
	v_add3_u32 v12, v11, v1, v5
	v_add3_u32 v0, v7, v0, v9
	s_cbranch_scc1 .LBB22_1201
; %bb.1202:
	v_mov_b32_e32 v1, v12
	s_and_b32 s6, s31, 3
	s_cmp_eq_u32 s6, 0
	s_cbranch_scc0 .LBB22_1206
	s_branch .LBB22_1208
.LBB22_1203:
                                        ; implicit-def: $vgpr12
                                        ; implicit-def: $vgpr0
	s_branch .LBB22_1209
.LBB22_1204:
	v_mov_b32_e32 v12, 0
	v_mov_b32_e32 v0, 0
	s_branch .LBB22_1208
.LBB22_1205:
	v_mov_b32_e32 v0, 0
                                        ; implicit-def: $vgpr12
	s_waitcnt vmcnt(0)
	v_mov_b32_e32 v1, v0
	v_mov_b32_e32 v3, v16
	s_and_b32 s6, s31, 3
	s_cmp_eq_u32 s6, 0
	s_cbranch_scc1 .LBB22_1208
.LBB22_1206:
	s_lshl_b32 s2, s30, 3
	s_add_u32 s2, s34, s2
	s_addc_u32 s3, s35, 0
	s_add_u32 s2, s2, 0xc4
	s_addc_u32 s3, s3, 0
	s_mul_i32 s4, s30, 12
	s_add_u32 s4, s34, s4
	s_addc_u32 s5, s35, 0
.LBB22_1207:                            ; =>This Inner Loop Header: Depth=1
	s_load_dwordx2 s[8:9], s[4:5], 0x4
	s_load_dword s7, s[4:5], 0xc
	s_load_dwordx2 s[10:11], s[2:3], 0x0
	v_mov_b32_e32 v12, v1
	s_add_u32 s4, s4, 12
	s_waitcnt lgkmcnt(0)
	v_mul_hi_u32 v1, s9, v3
	v_add_u32_e32 v1, v3, v1
	v_lshrrev_b32_e32 v1, s7, v1
	s_addc_u32 s5, s5, 0
	v_mul_lo_u32 v5, v1, s8
	s_add_u32 s2, s2, 8
	v_sub_u32_e32 v5, v3, v5
	s_addc_u32 s3, s3, 0
	s_add_i32 s6, s6, -1
	v_mov_b32_e32 v3, v1
	v_mad_u64_u32 v[12:13], s[8:9], v5, s11, v[12:13]
	v_mad_u64_u32 v[0:1], s[8:9], v5, s10, v[0:1]
	s_cmp_lg_u32 s6, 0
	v_mov_b32_e32 v1, v12
	s_cbranch_scc1 .LBB22_1207
.LBB22_1208:
	s_cbranch_execnz .LBB22_1211
.LBB22_1209:
	s_load_dwordx4 s[4:7], s[34:35], 0x4
	s_load_dwordx2 s[2:3], s[34:35], 0xc4
	s_cmp_lt_u32 s33, 2
	s_waitcnt lgkmcnt(0)
	v_mul_hi_u32 v0, s5, v16
	v_add_u32_e32 v0, v16, v0
	s_waitcnt vmcnt(0)
	v_lshrrev_b32_e32 v1, s6, v0
	v_mul_lo_u32 v0, v1, s4
	v_sub_u32_e32 v0, v16, v0
	v_mul_lo_u32 v12, v0, s3
	v_mul_lo_u32 v0, v0, s2
	s_cbranch_scc1 .LBB22_1211
; %bb.1210:
	s_load_dwordx4 s[4:7], s[34:35], 0x10
	s_load_dwordx2 s[2:3], s[34:35], 0xcc
	s_waitcnt lgkmcnt(0)
	v_mul_hi_u32 v3, s5, v1
	v_add_u32_e32 v3, v1, v3
	v_lshrrev_b32_e32 v3, s6, v3
	v_mul_lo_u32 v3, v3, s4
	v_sub_u32_e32 v3, v1, v3
	v_mad_u64_u32 v[0:1], s[4:5], v3, s2, v[0:1]
	v_mad_u64_u32 v[12:13], s[2:3], v3, s3, v[12:13]
.LBB22_1211:
	s_load_dword s18, s[0:1], 0x160
	s_load_dwordx4 s[8:11], s[34:35], 0x148
	v_mov_b32_e32 v9, 0
	s_waitcnt lgkmcnt(0)
	s_bfe_u32 s14, s18, 0x80010
	s_cmp_lt_i32 s14, 11
	v_lshl_add_u64 v[8:9], s[10:11], 0, v[8:9]
	s_cbranch_scc1 .LBB22_1218
; %bb.1212:
	s_and_b32 s15, 0xffff, s14
	s_cmp_gt_i32 s15, 25
	s_mov_b64 s[2:3], 0
	s_cbranch_scc0 .LBB22_1220
; %bb.1213:
	s_cmp_gt_i32 s15, 28
	s_cbranch_scc0 .LBB22_1221
; %bb.1214:
	s_cmp_gt_i32 s15, 43
	;; [unrolled: 3-line block ×3, first 2 shown]
	s_cbranch_scc0 .LBB22_1223
; %bb.1216:
	s_cmp_eq_u32 s15, 46
	s_mov_b64 s[6:7], 0
	s_cbranch_scc0 .LBB22_1226
; %bb.1217:
	global_load_dword v1, v[8:9], off
	s_mov_b64 s[0:1], 0
	s_mov_b64 s[4:5], -1
	s_waitcnt vmcnt(0)
	v_lshlrev_b32_e32 v1, 16, v1
	s_branch .LBB22_1227
.LBB22_1218:
	s_mov_b64 s[4:5], 0
                                        ; implicit-def: $vgpr1
	s_mov_b64 s[6:7], s[24:25]
	s_cbranch_execnz .LBB22_1290
.LBB22_1219:
	s_andn2_b64 vcc, exec, s[4:5]
	s_cbranch_vccz .LBB22_1335
	s_branch .LBB22_1780
.LBB22_1220:
	s_mov_b64 s[4:5], 0
	s_mov_b64 s[0:1], 0
                                        ; implicit-def: $vgpr1
	s_cbranch_execnz .LBB22_1255
	s_branch .LBB22_1286
.LBB22_1221:
	s_mov_b64 s[6:7], -1
	s_mov_b64 s[4:5], 0
	s_mov_b64 s[0:1], 0
                                        ; implicit-def: $vgpr1
	s_branch .LBB22_1236
.LBB22_1222:
	s_mov_b64 s[4:5], 0
	s_mov_b64 s[0:1], 0
                                        ; implicit-def: $vgpr1
	s_cbranch_execnz .LBB22_1232
	s_branch .LBB22_1235
.LBB22_1223:
	s_mov_b64 s[6:7], -1
	s_mov_b64 s[4:5], 0
	s_mov_b64 s[0:1], 0
                                        ; implicit-def: $vgpr1
	s_branch .LBB22_1227
.LBB22_1224:
	s_andn2_saveexec_b64 s[12:13], s[12:13]
	s_cbranch_execz .LBB22_1067
.LBB22_1225:
	s_mov_b32 s14, 0x46000000
	v_add_f32_e64 v0, |v2|, s14
	v_and_b32_e32 v0, 0xff, v0
	v_cmp_ne_u32_e32 vcc, 0, v0
	s_andn2_b64 s[6:7], s[6:7], exec
	s_and_b64 s[14:15], vcc, exec
	s_or_b64 s[6:7], s[6:7], s[14:15]
	s_or_b64 exec, exec, s[12:13]
	v_mov_b32_e32 v1, 0
	s_and_saveexec_b64 s[12:13], s[6:7]
	s_cbranch_execnz .LBB22_1068
	s_branch .LBB22_1069
.LBB22_1226:
	s_mov_b64 s[0:1], -1
                                        ; implicit-def: $vgpr1
	s_mov_b64 s[4:5], 0
.LBB22_1227:
	s_and_b64 vcc, exec, s[6:7]
	s_cbranch_vccz .LBB22_1230
; %bb.1228:
	s_cmp_eq_u32 s15, 44
	s_cbranch_scc0 .LBB22_1231
; %bb.1229:
	global_load_ubyte v1, v[8:9], off
	s_movk_i32 s4, 0xff
	v_mov_b32_e32 v3, 0x7f800001
	v_mov_b32_e32 v5, 0x400000
	s_mov_b64 s[0:1], 0
	s_waitcnt vmcnt(0)
	v_lshlrev_b32_e32 v7, 23, v1
	v_cmp_ne_u32_e32 vcc, s4, v1
	s_mov_b64 s[4:5], -1
	s_nop 0
	v_cndmask_b32_e32 v3, v3, v7, vcc
	v_cmp_ne_u32_e32 vcc, 0, v1
	s_nop 1
	v_cndmask_b32_e32 v1, v5, v3, vcc
.LBB22_1230:
	s_branch .LBB22_1235
.LBB22_1231:
	s_mov_b64 s[0:1], -1
                                        ; implicit-def: $vgpr1
	s_branch .LBB22_1235
.LBB22_1232:
	s_cmp_eq_u32 s15, 29
	s_cbranch_scc0 .LBB22_1234
; %bb.1233:
	global_load_dwordx2 v[16:17], v[8:9], off
	s_mov_b64 s[0:1], 0
	s_mov_b64 s[4:5], -1
	s_mov_b64 s[6:7], 0
	s_waitcnt vmcnt(0)
	v_ffbh_u32_e32 v1, v17
	v_min_u32_e32 v1, 32, v1
	v_lshlrev_b64 v[16:17], v1, v[16:17]
	v_min_u32_e32 v3, 1, v16
	v_or_b32_e32 v3, v17, v3
	v_cvt_f32_u32_e32 v3, v3
	v_sub_u32_e32 v1, 32, v1
	v_ldexp_f32 v1, v3, v1
	s_branch .LBB22_1236
.LBB22_1234:
	s_mov_b64 s[0:1], -1
                                        ; implicit-def: $vgpr1
.LBB22_1235:
	s_mov_b64 s[6:7], 0
.LBB22_1236:
	s_and_b64 vcc, exec, s[6:7]
	s_cbranch_vccz .LBB22_1254
; %bb.1237:
	s_cmp_lt_i32 s15, 27
	s_cbranch_scc1 .LBB22_1240
; %bb.1238:
	s_cmp_gt_i32 s15, 27
	s_cbranch_scc0 .LBB22_1241
; %bb.1239:
	global_load_dword v1, v[8:9], off
	s_mov_b64 s[4:5], 0
	s_waitcnt vmcnt(0)
	v_cvt_f32_u32_e32 v1, v1
	s_branch .LBB22_1242
.LBB22_1240:
	s_mov_b64 s[4:5], -1
                                        ; implicit-def: $vgpr1
	s_branch .LBB22_1245
.LBB22_1241:
	s_mov_b64 s[4:5], -1
                                        ; implicit-def: $vgpr1
.LBB22_1242:
	s_andn2_b64 vcc, exec, s[4:5]
	s_cbranch_vccnz .LBB22_1244
; %bb.1243:
	global_load_ushort v1, v[8:9], off
	s_waitcnt vmcnt(0)
	v_cvt_f32_u32_e32 v1, v1
.LBB22_1244:
	s_mov_b64 s[4:5], 0
.LBB22_1245:
	s_andn2_b64 vcc, exec, s[4:5]
	s_cbranch_vccnz .LBB22_1253
; %bb.1246:
	global_load_ubyte v3, v[8:9], off
	s_movk_i32 s4, 0x7f
	s_waitcnt vmcnt(0)
	v_cmp_lt_i16_e32 vcc, s4, v3
	s_mov_b64 s[4:5], 0
	s_and_saveexec_b64 s[6:7], vcc
	s_xor_b64 s[6:7], exec, s[6:7]
	s_cbranch_execz .LBB22_1266
; %bb.1247:
	s_movk_i32 s4, 0x80
	v_cmp_eq_u16_e32 vcc, s4, v3
	s_mov_b64 s[4:5], -1
	s_and_saveexec_b64 s[12:13], vcc
; %bb.1248:
	s_xor_b64 s[4:5], exec, -1
; %bb.1249:
	s_or_b64 exec, exec, s[12:13]
	s_and_b64 s[4:5], s[4:5], exec
	s_or_saveexec_b64 s[6:7], s[6:7]
	v_mov_b32_e32 v1, 0x7f800001
	s_xor_b64 exec, exec, s[6:7]
	s_cbranch_execnz .LBB22_1267
.LBB22_1250:
	s_or_b64 exec, exec, s[6:7]
	s_and_saveexec_b64 s[6:7], s[4:5]
	s_cbranch_execz .LBB22_1252
.LBB22_1251:
	v_lshlrev_b32_e32 v1, 24, v3
	v_and_b32_e32 v3, 0xffff, v3
	v_and_b32_e32 v5, 7, v3
	v_ffbh_u32_e32 v11, v5
	v_min_u32_e32 v11, 32, v11
	v_subrev_u32_e32 v13, 28, v11
	v_bfe_u32 v7, v3, 3, 4
	v_lshlrev_b32_e32 v3, v13, v3
	v_sub_u32_e32 v11, 29, v11
	v_and_b32_e32 v3, 7, v3
	v_cmp_eq_u32_e32 vcc, 0, v7
	v_and_b32_e32 v1, 0x80000000, v1
	s_nop 0
	v_cndmask_b32_e32 v7, v7, v11, vcc
	v_cndmask_b32_e32 v3, v5, v3, vcc
	v_mov_b32_e32 v5, 0x3b800000
	v_lshlrev_b32_e32 v3, 20, v3
	v_lshl_add_u32 v5, v7, 23, v5
	v_or3_b32 v1, v1, v5, v3
.LBB22_1252:
	s_or_b64 exec, exec, s[6:7]
.LBB22_1253:
	s_mov_b64 s[4:5], -1
.LBB22_1254:
	s_branch .LBB22_1286
.LBB22_1255:
	s_cmp_gt_i32 s15, 22
	s_cbranch_scc0 .LBB22_1265
; %bb.1256:
	s_cmp_lt_i32 s15, 24
	s_cbranch_scc1 .LBB22_1268
; %bb.1257:
	s_cmp_gt_i32 s15, 24
	s_cbranch_scc0 .LBB22_1269
; %bb.1258:
	global_load_ubyte v3, v[8:9], off
	s_movk_i32 s2, 0x7f
	s_waitcnt vmcnt(0)
	v_cmp_lt_i16_e32 vcc, s2, v3
	s_mov_b64 s[2:3], 0
	s_and_saveexec_b64 s[4:5], vcc
	s_xor_b64 s[4:5], exec, s[4:5]
	s_cbranch_execz .LBB22_1280
; %bb.1259:
	s_movk_i32 s2, 0x80
	v_cmp_eq_u16_e32 vcc, s2, v3
	s_mov_b64 s[2:3], -1
	s_and_saveexec_b64 s[6:7], vcc
; %bb.1260:
	s_xor_b64 s[2:3], exec, -1
; %bb.1261:
	s_or_b64 exec, exec, s[6:7]
	s_and_b64 s[2:3], s[2:3], exec
	s_or_saveexec_b64 s[4:5], s[4:5]
	v_mov_b32_e32 v1, 0x7f800001
	s_xor_b64 exec, exec, s[4:5]
	s_cbranch_execnz .LBB22_1281
.LBB22_1262:
	s_or_b64 exec, exec, s[4:5]
	s_and_saveexec_b64 s[4:5], s[2:3]
	s_cbranch_execz .LBB22_1264
.LBB22_1263:
	v_lshlrev_b32_e32 v1, 24, v3
	v_and_b32_e32 v3, 0xffff, v3
	v_and_b32_e32 v5, 3, v3
	v_ffbh_u32_e32 v11, v5
	v_min_u32_e32 v11, 32, v11
	v_subrev_u32_e32 v13, 29, v11
	v_bfe_u32 v7, v3, 2, 5
	v_lshlrev_b32_e32 v3, v13, v3
	v_sub_u32_e32 v11, 30, v11
	v_and_b32_e32 v3, 3, v3
	v_cmp_eq_u32_e32 vcc, 0, v7
	v_and_b32_e32 v1, 0x80000000, v1
	s_nop 0
	v_cndmask_b32_e32 v7, v7, v11, vcc
	v_cndmask_b32_e32 v3, v5, v3, vcc
	v_mov_b32_e32 v5, 0x37800000
	v_lshlrev_b32_e32 v3, 21, v3
	v_lshl_add_u32 v5, v7, 23, v5
	v_or3_b32 v1, v1, v5, v3
.LBB22_1264:
	s_or_b64 exec, exec, s[4:5]
	s_mov_b64 s[2:3], 0
	s_branch .LBB22_1270
.LBB22_1265:
                                        ; implicit-def: $vgpr1
	s_mov_b64 s[2:3], 0
	s_branch .LBB22_1276
.LBB22_1266:
	s_or_saveexec_b64 s[6:7], s[6:7]
	v_mov_b32_e32 v1, 0x7f800001
	s_xor_b64 exec, exec, s[6:7]
	s_cbranch_execz .LBB22_1250
.LBB22_1267:
	v_cmp_ne_u16_e32 vcc, 0, v3
	s_andn2_b64 s[4:5], s[4:5], exec
	s_and_b64 s[12:13], vcc, exec
	v_mov_b32_e32 v1, 0
	s_or_b64 s[4:5], s[4:5], s[12:13]
	s_or_b64 exec, exec, s[6:7]
	s_and_saveexec_b64 s[6:7], s[4:5]
	s_cbranch_execnz .LBB22_1251
	s_branch .LBB22_1252
.LBB22_1268:
	s_mov_b64 s[2:3], -1
                                        ; implicit-def: $vgpr1
	s_branch .LBB22_1273
.LBB22_1269:
	s_mov_b64 s[2:3], -1
                                        ; implicit-def: $vgpr1
.LBB22_1270:
	s_and_b64 vcc, exec, s[2:3]
	s_cbranch_vccz .LBB22_1272
; %bb.1271:
	global_load_ubyte v1, v[8:9], off
	s_mov_b32 s2, 0x7f800000
	s_waitcnt vmcnt(0)
	v_lshlrev_b32_e32 v1, 24, v1
	v_and_b32_e32 v3, 0x7f000000, v1
	v_ffbh_u32_e32 v5, v3
	v_min_u32_e32 v5, 32, v5
	v_sub_u32_e64 v5, v5, 4 clamp
	v_lshlrev_b32_e32 v11, v5, v3
	v_lshlrev_b32_e32 v5, 23, v5
	v_lshrrev_b32_e32 v11, 4, v11
	v_add_u32_e32 v7, 0x1000000, v3
	v_sub_u32_e32 v5, v11, v5
	v_ashrrev_i32_e32 v7, 8, v7
	v_add_u32_e32 v5, 0x3c000000, v5
	v_and_or_b32 v5, v7, s2, v5
	v_cmp_ne_u32_e32 vcc, 0, v3
	s_brev_b32 s2, 1
	s_nop 0
	v_cndmask_b32_e32 v3, 0, v5, vcc
	v_and_or_b32 v1, v1, s2, v3
.LBB22_1272:
	s_mov_b64 s[2:3], 0
.LBB22_1273:
	s_andn2_b64 vcc, exec, s[2:3]
	s_cbranch_vccnz .LBB22_1275
; %bb.1274:
	global_load_ubyte v1, v[8:9], off
	s_movk_i32 s2, 0x7f00
	s_brev_b32 s3, 16
	s_waitcnt vmcnt(0)
	v_lshlrev_b16_e32 v3, 8, v1
	v_lshlrev_b32_e32 v1, 25, v1
	v_lshrrev_b32_e32 v5, 4, v1
	v_and_or_b32 v7, v3, s2, 0.5
	v_or_b32_e32 v5, 0x70000000, v5
	v_add_f32_e32 v7, -0.5, v7
	v_mul_f32_e32 v5, 0x7800000, v5
	v_cmp_gt_u32_e32 vcc, s3, v1
	v_bfe_i32 v3, v3, 0, 16
	s_brev_b32 s2, 1
	v_cndmask_b32_e32 v1, v5, v7, vcc
	v_and_or_b32 v1, v3, s2, v1
.LBB22_1275:
	s_mov_b64 s[4:5], -1
	s_mov_b64 s[2:3], 0
	s_cbranch_execnz .LBB22_1286
.LBB22_1276:
	s_cmp_gt_i32 s15, 14
	s_cbranch_scc0 .LBB22_1279
; %bb.1277:
	s_cmp_eq_u32 s15, 15
	s_cbranch_scc0 .LBB22_1282
; %bb.1278:
	global_load_ushort v1, v[8:9], off
	s_mov_b64 s[0:1], 0
	s_mov_b64 s[4:5], -1
	s_waitcnt vmcnt(0)
	v_lshlrev_b32_e32 v1, 16, v1
	s_branch .LBB22_1283
.LBB22_1279:
	s_mov_b64 s[6:7], -1
                                        ; implicit-def: $vgpr1
	s_branch .LBB22_1284
.LBB22_1280:
	s_or_saveexec_b64 s[4:5], s[4:5]
	v_mov_b32_e32 v1, 0x7f800001
	s_xor_b64 exec, exec, s[4:5]
	s_cbranch_execz .LBB22_1262
.LBB22_1281:
	v_cmp_ne_u16_e32 vcc, 0, v3
	s_andn2_b64 s[2:3], s[2:3], exec
	s_and_b64 s[6:7], vcc, exec
	v_mov_b32_e32 v1, 0
	s_or_b64 s[2:3], s[2:3], s[6:7]
	s_or_b64 exec, exec, s[4:5]
	s_and_saveexec_b64 s[4:5], s[2:3]
	s_cbranch_execnz .LBB22_1263
	s_branch .LBB22_1264
.LBB22_1282:
	s_mov_b64 s[0:1], -1
                                        ; implicit-def: $vgpr1
.LBB22_1283:
	s_mov_b64 s[6:7], 0
.LBB22_1284:
	s_and_b64 vcc, exec, s[6:7]
	s_cbranch_vccz .LBB22_1286
; %bb.1285:
	s_cmp_lg_u32 s15, 11
	s_mov_b64 s[2:3], -1
	s_cselect_b64 s[0:1], -1, 0
.LBB22_1286:
	s_and_b64 vcc, exec, s[0:1]
	s_mov_b64 s[6:7], s[24:25]
	s_cbranch_vccnz .LBB22_1363
; %bb.1287:
	s_andn2_b64 vcc, exec, s[2:3]
	s_cbranch_vccnz .LBB22_1289
.LBB22_1288:
	global_load_ubyte v1, v[8:9], off
	s_mov_b64 s[4:5], -1
	s_waitcnt vmcnt(0)
	v_cmp_ne_u16_e32 vcc, 0, v1
	s_nop 1
	v_cndmask_b32_e64 v1, 0, 1.0, vcc
.LBB22_1289:
	s_branch .LBB22_1219
.LBB22_1290:
	s_and_b32 s2, 0xffff, s14
	s_cmp_lt_i32 s2, 5
	s_cbranch_scc1 .LBB22_1295
; %bb.1291:
	s_cmp_lt_i32 s2, 8
	s_cbranch_scc1 .LBB22_1296
; %bb.1292:
	;; [unrolled: 3-line block ×3, first 2 shown]
	s_cmp_gt_i32 s2, 9
	s_cbranch_scc0 .LBB22_1298
; %bb.1294:
	global_load_dwordx2 v[16:17], v[8:9], off
	s_mov_b64 s[0:1], 0
	s_waitcnt vmcnt(0)
	v_cvt_f32_f64_e32 v1, v[16:17]
	s_branch .LBB22_1299
.LBB22_1295:
                                        ; implicit-def: $vgpr1
	s_branch .LBB22_1316
.LBB22_1296:
                                        ; implicit-def: $vgpr1
	s_branch .LBB22_1305
.LBB22_1297:
	s_mov_b64 s[0:1], -1
                                        ; implicit-def: $vgpr1
	s_branch .LBB22_1302
.LBB22_1298:
	s_mov_b64 s[0:1], -1
                                        ; implicit-def: $vgpr1
.LBB22_1299:
	s_andn2_b64 vcc, exec, s[0:1]
	s_cbranch_vccnz .LBB22_1301
; %bb.1300:
	global_load_dword v1, v[8:9], off
.LBB22_1301:
	s_mov_b64 s[0:1], 0
.LBB22_1302:
	s_andn2_b64 vcc, exec, s[0:1]
	s_cbranch_vccnz .LBB22_1304
; %bb.1303:
	global_load_dword v1, v[8:9], off
	s_waitcnt vmcnt(0)
	v_cvt_f32_f16_e32 v1, v1
.LBB22_1304:
	s_cbranch_execnz .LBB22_1315
.LBB22_1305:
	s_cmp_lt_i32 s2, 6
	s_cbranch_scc1 .LBB22_1308
; %bb.1306:
	s_cmp_gt_i32 s2, 6
	s_cbranch_scc0 .LBB22_1309
; %bb.1307:
	global_load_dwordx2 v[16:17], v[8:9], off
	s_mov_b64 s[0:1], 0
	s_waitcnt vmcnt(0)
	v_cvt_f32_f64_e32 v1, v[16:17]
	s_branch .LBB22_1310
.LBB22_1308:
	s_mov_b64 s[0:1], -1
                                        ; implicit-def: $vgpr1
	s_branch .LBB22_1313
.LBB22_1309:
	s_mov_b64 s[0:1], -1
                                        ; implicit-def: $vgpr1
.LBB22_1310:
	s_andn2_b64 vcc, exec, s[0:1]
	s_cbranch_vccnz .LBB22_1312
; %bb.1311:
	global_load_dword v1, v[8:9], off
.LBB22_1312:
	s_mov_b64 s[0:1], 0
.LBB22_1313:
	s_andn2_b64 vcc, exec, s[0:1]
	s_cbranch_vccnz .LBB22_1315
; %bb.1314:
	global_load_ushort v1, v[8:9], off
	s_waitcnt vmcnt(0)
	v_cvt_f32_f16_e32 v1, v1
.LBB22_1315:
	s_cbranch_execnz .LBB22_1334
.LBB22_1316:
	s_cmp_lt_i32 s2, 2
	s_cbranch_scc1 .LBB22_1320
; %bb.1317:
	s_cmp_lt_i32 s2, 3
	s_cbranch_scc1 .LBB22_1321
; %bb.1318:
	s_cmp_gt_i32 s2, 3
	s_cbranch_scc0 .LBB22_1322
; %bb.1319:
	global_load_dwordx2 v[16:17], v[8:9], off
	s_mov_b64 s[0:1], 0
	s_waitcnt vmcnt(0)
	v_xor_b32_e32 v3, v16, v17
	v_ffbh_i32_e32 v1, v17
	v_ashrrev_i32_e32 v3, 31, v3
	v_add_u32_e32 v1, -1, v1
	v_add_u32_e32 v3, 32, v3
	v_min_u32_e32 v1, v1, v3
	v_lshlrev_b64 v[16:17], v1, v[16:17]
	v_min_u32_e32 v3, 1, v16
	v_or_b32_e32 v3, v17, v3
	v_cvt_f32_i32_e32 v3, v3
	v_sub_u32_e32 v1, 32, v1
	v_ldexp_f32 v1, v3, v1
	s_branch .LBB22_1323
.LBB22_1320:
                                        ; implicit-def: $vgpr1
	s_branch .LBB22_1329
.LBB22_1321:
	s_mov_b64 s[0:1], -1
                                        ; implicit-def: $vgpr1
	s_branch .LBB22_1326
.LBB22_1322:
	s_mov_b64 s[0:1], -1
                                        ; implicit-def: $vgpr1
.LBB22_1323:
	s_andn2_b64 vcc, exec, s[0:1]
	s_cbranch_vccnz .LBB22_1325
; %bb.1324:
	global_load_dword v1, v[8:9], off
	s_waitcnt vmcnt(0)
	v_cvt_f32_i32_e32 v1, v1
.LBB22_1325:
	s_mov_b64 s[0:1], 0
.LBB22_1326:
	s_andn2_b64 vcc, exec, s[0:1]
	s_cbranch_vccnz .LBB22_1328
; %bb.1327:
	global_load_sshort v1, v[8:9], off
	s_waitcnt vmcnt(0)
	v_cvt_f32_i32_e32 v1, v1
.LBB22_1328:
	s_cbranch_execnz .LBB22_1334
.LBB22_1329:
	s_cmp_gt_i32 s2, 0
	s_cbranch_scc0 .LBB22_1331
; %bb.1330:
	global_load_sbyte v1, v[8:9], off
	s_mov_b64 s[0:1], 0
	s_waitcnt vmcnt(0)
	v_cvt_f32_i32_e32 v1, v1
	s_branch .LBB22_1332
.LBB22_1331:
	s_mov_b64 s[0:1], -1
                                        ; implicit-def: $vgpr1
.LBB22_1332:
	s_andn2_b64 vcc, exec, s[0:1]
	s_cbranch_vccnz .LBB22_1334
; %bb.1333:
	global_load_ubyte v1, v[8:9], off
	s_waitcnt vmcnt(0)
	v_cvt_f32_ubyte0_e32 v1, v1
.LBB22_1334:
.LBB22_1335:
	s_mov_b32 s0, 0x40a00000
	s_waitcnt vmcnt(0)
	v_cmp_ge_f32_e32 vcc, s0, v1
                                        ; implicit-def: $vgpr8
	s_and_saveexec_b64 s[0:1], vcc
	s_xor_b64 s[2:3], exec, s[0:1]
	s_cbranch_execz .LBB22_1341
; %bb.1336:
	v_cmp_neq_f32_e32 vcc, 0, v1
	v_mov_b32_e32 v8, 0xff800000
	s_and_saveexec_b64 s[4:5], vcc
	s_cbranch_execz .LBB22_1340
; %bb.1337:
	v_cmp_nge_f32_e32 vcc, 0, v1
	v_mov_b32_e32 v8, 0x7fc00000
	s_and_saveexec_b64 s[12:13], vcc
	s_cbranch_execz .LBB22_1339
; %bb.1338:
	v_mul_f32_e32 v8, v1, v1
	v_mov_b32_e32 v3, 0x4414934d
	v_fmac_f32_e32 v3, 0, v8
	v_fmaak_f32 v3, v8, v3, 0x48660b06
	s_mov_b32 s0, 0x4e9695f3
	v_mul_f32_e32 v16, 0, v8
	v_mul_f32_e32 v17, v8, v3
	s_mov_b32 s1, 0x4c8c277d
	v_pk_add_f32 v[18:19], v[16:17], s[0:1]
	s_mov_b32 s0, 0xd316b96b
	s_mov_b32 s1, 0x508bc61d
	v_pk_fma_f32 v[18:19], v[8:9], v[18:19], s[0:1] op_sel_hi:[0,1,1]
	s_mov_b32 s0, 0x56d04aa6
	s_mov_b32 s1, 0x5461faf8
	v_pk_fma_f32 v[18:19], v[8:9], v[18:19], s[0:1] op_sel_hi:[0,1,1]
	;; [unrolled: 3-line block ×5, first 2 shown]
	v_div_scale_f32 v3, s[0:1], v19, v19, v18
	v_rcp_f32_e32 v5, v3
	s_mov_b32 s0, 0xce5691e2
	s_mov_b32 s1, 0x548a37dc
	v_fma_f32 v7, -v3, v5, 1.0
	v_fmac_f32_e32 v5, v7, v5
	v_div_scale_f32 v7, vcc, v18, v19, v18
	v_mul_f32_e32 v9, v7, v5
	v_fma_f32 v11, -v3, v9, v7
	v_fmac_f32_e32 v9, v11, v5
	v_fma_f32 v3, -v3, v9, v7
	v_mov_b32_e32 v7, 0x441b3589
	v_fmac_f32_e32 v7, 0, v8
	v_fmaak_f32 v7, v8, v7, 0x487af6d0
	v_fmaak_f32 v7, v8, v7, 0x4c9f4aa7
	;; [unrolled: 1-line block ×3, first 2 shown]
	v_mul_f32_e32 v17, v8, v7
	v_pk_add_f32 v[16:17], v[16:17], s[0:1]
	s_mov_b32 s0, 0x52d295d0
	s_mov_b32 s1, 0x58325852
	v_pk_fma_f32 v[16:17], v[8:9], v[16:17], s[0:1] op_sel_hi:[0,1,1]
	s_mov_b32 s0, 0xd6845497
	s_mov_b32 s1, 0x5b9f0600
	v_pk_fma_f32 v[16:17], v[8:9], v[16:17], s[0:1] op_sel_hi:[0,1,1]
	;; [unrolled: 3-line block ×3, first 2 shown]
	v_div_scale_f32 v7, s[0:1], v17, v17, v16
	v_rcp_f32_e32 v11, v7
	v_div_fmas_f32 v3, v3, v5, v9
	s_mov_b32 s0, 0xc244dfb3
	s_mov_b32 s1, 0xc16ae95a
	v_fma_f32 v5, -v7, v11, 1.0
	v_fmac_f32_e32 v11, v5, v11
	v_div_scale_f32 v5, vcc, v16, v17, v16
	v_mul_f32_e32 v9, v5, v11
	v_fma_f32 v13, -v7, v9, v5
	v_fmac_f32_e32 v9, v13, v11
	v_fma_f32 v5, -v7, v9, v5
	v_div_fmas_f32 v5, v5, v11, v9
	v_pk_add_f32 v[8:9], v[8:9], s[0:1] op_sel_hi:[0,1]
	s_mov_b32 s0, 0x800000
	v_cmp_gt_f32_e32 vcc, s0, v1
	v_div_fixup_f32 v5, v5, v17, v16
	v_mul_f32_e32 v5, v1, v5
	v_cndmask_b32_e64 v7, 0, 32, vcc
	v_ldexp_f32 v7, v1, v7
	v_log_f32_e32 v7, v7
	v_mul_f32_e32 v5, v9, v5
	v_mul_f32_e32 v5, v8, v5
	s_mov_b32 s0, 0x3f317217
	v_mul_f32_e32 v8, 0x3f317217, v7
	v_fma_f32 v8, v7, s0, -v8
	v_fmamk_f32 v8, v7, 0x3377d1cf, v8
	s_mov_b32 s0, 0x7f800000
	v_fmac_f32_e32 v8, 0x3f317217, v7
	v_cmp_lt_f32_e64 s[0:1], |v7|, s0
	v_mov_b32_e32 v11, 0x41b17218
	v_cndmask_b32_e32 v11, 0, v11, vcc
	v_cndmask_b32_e64 v7, v7, v8, s[0:1]
	v_div_scale_f32 v8, s[0:1], v1, v1, -1.0
	v_rcp_f32_e32 v9, v8
	v_sub_f32_e32 v7, v7, v11
	v_div_fixup_f32 v3, v3, v19, v18
	v_fma_f32 v11, -v8, v9, 1.0
	v_fmac_f32_e32 v9, v11, v9
	v_div_scale_f32 v11, vcc, -1.0, v1, -1.0
	v_mul_f32_e32 v13, v11, v9
	v_fma_f32 v15, -v8, v13, v11
	v_fmac_f32_e32 v13, v15, v9
	v_fma_f32 v8, -v8, v13, v11
	v_div_fmas_f32 v8, v8, v9, v13
	v_div_fixup_f32 v8, v8, v1, -1.0
	v_fmac_f32_e32 v8, v7, v5
	v_mul_f32_e32 v8, 0x3f22f983, v8
	v_fmac_f32_e32 v8, v1, v3
.LBB22_1339:
	s_or_b64 exec, exec, s[12:13]
.LBB22_1340:
	s_or_b64 exec, exec, s[4:5]
                                        ; implicit-def: $vgpr1
.LBB22_1341:
	s_andn2_saveexec_b64 s[12:13], s[2:3]
	s_cbranch_execz .LBB22_1351
; %bb.1342:
	v_add_f32_e32 v3, 0xc016cbe4, v1
	s_brev_b32 s0, 18
	v_and_b32_e32 v5, 0x7fffffff, v3
	v_cmp_nlt_f32_e64 s[14:15], |v3|, s0
                                        ; implicit-def: $vgpr7
                                        ; implicit-def: $vgpr8
	s_and_saveexec_b64 s[0:1], s[14:15]
	s_xor_b64 s[16:17], exec, s[0:1]
	s_cbranch_execz .LBB22_1344
; %bb.1343:
	v_lshrrev_b32_e32 v7, 23, v5
	v_add_u32_e32 v7, 0xffffff88, v7
	v_not_b32_e32 v8, 63
	v_cmp_lt_u32_e32 vcc, 63, v7
	s_mov_b32 s4, 0xfe5163ab
	v_mov_b32_e32 v17, 0
	v_cndmask_b32_e32 v8, 0, v8, vcc
	v_add_u32_e32 v7, v8, v7
	v_not_b32_e32 v8, 31
	v_cmp_lt_u32_e64 s[0:1], 31, v7
	s_nop 1
	v_cndmask_b32_e64 v9, 0, v8, s[0:1]
	v_add_u32_e32 v7, v9, v7
	v_cmp_lt_u32_e64 s[2:3], 31, v7
	s_nop 1
	v_cndmask_b32_e64 v8, 0, v8, s[2:3]
	v_add_u32_e32 v7, v8, v7
	v_and_b32_e32 v8, 0x7fffff, v5
	v_or_b32_e32 v11, 0x800000, v8
	v_mad_u64_u32 v[8:9], s[4:5], v11, s4, 0
	v_mov_b32_e32 v16, v9
	s_mov_b32 s4, 0x3c439041
	v_mad_u64_u32 v[18:19], s[4:5], v11, s4, v[16:17]
	v_mov_b32_e32 v16, v19
	s_mov_b32 s4, 0xdb629599
	;; [unrolled: 3-line block ×6, first 2 shown]
	v_mad_u64_u32 v[16:17], s[4:5], v11, s4, v[16:17]
	v_cndmask_b32_e32 v9, v26, v22, vcc
	v_cndmask_b32_e32 v11, v16, v24, vcc
	;; [unrolled: 1-line block ×3, first 2 shown]
	v_cndmask_b32_e64 v13, v11, v9, s[0:1]
	v_cndmask_b32_e64 v11, v15, v11, s[0:1]
	v_cndmask_b32_e32 v15, v24, v20, vcc
	v_cndmask_b32_e64 v9, v9, v15, s[0:1]
	v_cndmask_b32_e64 v11, v11, v13, s[2:3]
	;; [unrolled: 1-line block ×3, first 2 shown]
	v_sub_u32_e32 v16, 32, v7
	v_alignbit_b32 v17, v11, v13, v16
	v_cmp_eq_u32_e64 s[4:5], 0, v7
	v_cndmask_b32_e32 v8, v20, v8, vcc
	s_nop 0
	v_cndmask_b32_e64 v7, v17, v11, s[4:5]
	v_cndmask_b32_e32 v11, v22, v18, vcc
	v_cndmask_b32_e64 v15, v15, v11, s[0:1]
	v_cndmask_b32_e64 v9, v9, v15, s[2:3]
	v_alignbit_b32 v17, v13, v9, v16
	v_cndmask_b32_e64 v8, v11, v8, s[0:1]
	v_cndmask_b32_e64 v13, v17, v13, s[4:5]
	v_bfe_u32 v19, v7, 29, 1
	v_cndmask_b32_e64 v8, v15, v8, s[2:3]
	v_alignbit_b32 v17, v7, v13, 30
	v_sub_u32_e32 v21, 0, v19
	v_alignbit_b32 v11, v9, v8, v16
	v_xor_b32_e32 v17, v17, v21
	v_cndmask_b32_e64 v9, v11, v9, s[4:5]
	v_alignbit_b32 v11, v13, v9, 30
	v_ffbh_u32_e32 v13, v17
	v_min_u32_e32 v13, 32, v13
	v_alignbit_b32 v8, v9, v8, 30
	v_xor_b32_e32 v11, v11, v21
	v_sub_u32_e32 v15, 31, v13
	v_xor_b32_e32 v8, v8, v21
	v_alignbit_b32 v16, v17, v11, v15
	v_alignbit_b32 v8, v11, v8, v15
	;; [unrolled: 1-line block ×3, first 2 shown]
	v_ffbh_u32_e32 v11, v9
	v_min_u32_e32 v11, 32, v11
	v_lshrrev_b32_e32 v18, 29, v7
	v_not_b32_e32 v15, v11
	v_alignbit_b32 v8, v9, v8, v15
	v_lshlrev_b32_e32 v9, 31, v18
	v_or_b32_e32 v15, 0x33000000, v9
	v_add_lshl_u32 v11, v11, v13, 23
	v_lshrrev_b32_e32 v8, 9, v8
	v_sub_u32_e32 v11, v15, v11
	v_or_b32_e32 v9, 0.5, v9
	v_lshlrev_b32_e32 v13, 23, v13
	v_or_b32_e32 v8, v11, v8
	v_lshrrev_b32_e32 v11, 9, v16
	v_sub_u32_e32 v9, v9, v13
	v_or_b32_e32 v9, v11, v9
	s_mov_b32 s0, 0x3fc90fda
	v_mul_f32_e32 v11, 0x3fc90fda, v9
	v_fma_f32 v13, v9, s0, -v11
	v_fmamk_f32 v9, v9, 0x33a22168, v13
	v_fmac_f32_e32 v9, 0x3fc90fda, v8
	v_lshrrev_b32_e32 v7, 30, v7
	v_add_f32_e32 v8, v11, v9
	v_add_u32_e32 v7, v19, v7
	s_andn2_saveexec_b64 s[0:1], s[16:17]
	s_cbranch_execz .LBB22_1346
	s_branch .LBB22_1345
.LBB22_1344:
	s_andn2_saveexec_b64 s[0:1], s[16:17]
	s_cbranch_execz .LBB22_1346
.LBB22_1345:
	s_mov_b32 s2, 0x3f22f983
	v_mul_f32_e64 v7, |v3|, s2
	v_rndne_f32_e32 v8, v7
	s_mov_b32 s2, 0xbfc90fda
	v_cvt_i32_f32_e32 v7, v8
	v_fma_f32 v9, v8, s2, |v3|
	v_fmamk_f32 v9, v8, 0xb3a22168, v9
	v_fmamk_f32 v8, v8, 0xa7c234c4, v9
.LBB22_1346:
	s_or_b64 exec, exec, s[0:1]
                                        ; implicit-def: $vgpr9
                                        ; implicit-def: $vgpr11
	s_and_saveexec_b64 s[0:1], s[14:15]
	s_xor_b64 s[14:15], exec, s[0:1]
	s_cbranch_execz .LBB22_1348
; %bb.1347:
	v_lshrrev_b32_e32 v9, 23, v5
	v_add_u32_e32 v9, 0xffffff88, v9
	v_not_b32_e32 v11, 63
	v_cmp_lt_u32_e32 vcc, 63, v9
	s_mov_b32 s4, 0xfe5163ab
	v_mov_b32_e32 v19, 0
	v_cndmask_b32_e32 v11, 0, v11, vcc
	v_add_u32_e32 v9, v11, v9
	v_not_b32_e32 v11, 31
	v_cmp_lt_u32_e64 s[0:1], 31, v9
	s_nop 1
	v_cndmask_b32_e64 v13, 0, v11, s[0:1]
	v_add_u32_e32 v9, v13, v9
	v_cmp_lt_u32_e64 s[2:3], 31, v9
	s_nop 1
	v_cndmask_b32_e64 v11, 0, v11, s[2:3]
	v_add_u32_e32 v9, v11, v9
	v_and_b32_e32 v11, 0x7fffff, v5
	v_or_b32_e32 v11, 0x800000, v11
	v_mad_u64_u32 v[16:17], s[4:5], v11, s4, 0
	v_mov_b32_e32 v18, v17
	s_mov_b32 s4, 0x3c439041
	v_mad_u64_u32 v[20:21], s[4:5], v11, s4, v[18:19]
	v_mov_b32_e32 v18, v21
	s_mov_b32 s4, 0xdb629599
	;; [unrolled: 3-line block ×6, first 2 shown]
	v_mad_u64_u32 v[18:19], s[4:5], v11, s4, v[18:19]
	v_cndmask_b32_e32 v13, v28, v24, vcc
	v_cndmask_b32_e32 v11, v18, v26, vcc
	v_cndmask_b32_e32 v17, v19, v28, vcc
	v_cndmask_b32_e64 v15, v11, v13, s[0:1]
	v_cndmask_b32_e64 v11, v17, v11, s[0:1]
	v_cndmask_b32_e32 v17, v26, v22, vcc
	v_cndmask_b32_e64 v13, v13, v17, s[0:1]
	v_cndmask_b32_e64 v11, v11, v15, s[2:3]
	;; [unrolled: 1-line block ×3, first 2 shown]
	v_sub_u32_e32 v18, 32, v9
	v_alignbit_b32 v19, v11, v15, v18
	v_cmp_eq_u32_e64 s[4:5], 0, v9
	v_cndmask_b32_e32 v16, v22, v16, vcc
	s_nop 0
	v_cndmask_b32_e64 v9, v19, v11, s[4:5]
	v_cndmask_b32_e32 v11, v24, v20, vcc
	v_cndmask_b32_e64 v17, v17, v11, s[0:1]
	v_cndmask_b32_e64 v13, v13, v17, s[2:3]
	v_alignbit_b32 v19, v15, v13, v18
	v_cndmask_b32_e64 v15, v19, v15, s[4:5]
	v_bfe_u32 v21, v9, 29, 1
	v_cndmask_b32_e64 v11, v11, v16, s[0:1]
	v_alignbit_b32 v19, v9, v15, 30
	v_sub_u32_e32 v23, 0, v21
	v_cndmask_b32_e64 v11, v17, v11, s[2:3]
	v_xor_b32_e32 v19, v19, v23
	v_alignbit_b32 v16, v13, v11, v18
	v_cndmask_b32_e64 v13, v16, v13, s[4:5]
	v_ffbh_u32_e32 v16, v19
	v_alignbit_b32 v15, v15, v13, 30
	v_min_u32_e32 v16, 32, v16
	v_alignbit_b32 v11, v13, v11, 30
	v_xor_b32_e32 v15, v15, v23
	v_sub_u32_e32 v17, 31, v16
	v_xor_b32_e32 v11, v11, v23
	v_alignbit_b32 v18, v19, v15, v17
	v_alignbit_b32 v11, v15, v11, v17
	;; [unrolled: 1-line block ×3, first 2 shown]
	v_ffbh_u32_e32 v15, v13
	v_min_u32_e32 v15, 32, v15
	v_lshrrev_b32_e32 v20, 29, v9
	v_not_b32_e32 v17, v15
	v_alignbit_b32 v11, v13, v11, v17
	v_lshlrev_b32_e32 v13, 31, v20
	v_or_b32_e32 v17, 0x33000000, v13
	v_add_lshl_u32 v15, v15, v16, 23
	v_lshrrev_b32_e32 v11, 9, v11
	v_sub_u32_e32 v15, v17, v15
	v_or_b32_e32 v13, 0.5, v13
	v_lshlrev_b32_e32 v16, 23, v16
	v_or_b32_e32 v11, v15, v11
	v_lshrrev_b32_e32 v15, 9, v18
	v_sub_u32_e32 v13, v13, v16
	v_or_b32_e32 v13, v15, v13
	s_mov_b32 s0, 0x3fc90fda
	v_mul_f32_e32 v15, 0x3fc90fda, v13
	v_fma_f32 v16, v13, s0, -v15
	v_fmamk_f32 v13, v13, 0x33a22168, v16
	v_fmac_f32_e32 v13, 0x3fc90fda, v11
	v_lshrrev_b32_e32 v9, 30, v9
	v_add_f32_e32 v11, v15, v13
	v_add_u32_e32 v9, v21, v9
	s_andn2_saveexec_b64 s[0:1], s[14:15]
	s_cbranch_execnz .LBB22_1349
	s_branch .LBB22_1350
.LBB22_1348:
	s_andn2_saveexec_b64 s[0:1], s[14:15]
	s_cbranch_execz .LBB22_1350
.LBB22_1349:
	s_mov_b32 s2, 0x3f22f983
	v_mul_f32_e64 v9, |v3|, s2
	v_rndne_f32_e32 v11, v9
	s_mov_b32 s2, 0xbfc90fda
	v_cvt_i32_f32_e32 v9, v11
	v_fma_f32 v13, v11, s2, |v3|
	v_fmamk_f32 v13, v11, 0xb3a22168, v13
	v_fmamk_f32 v11, v11, 0xa7c234c4, v13
.LBB22_1350:
	s_or_b64 exec, exec, s[0:1]
	s_mov_b32 s2, 0x40a00000
	v_div_scale_f32 v13, s[0:1], v1, v1, s2
	v_rcp_f32_e32 v15, v13
	v_div_scale_f32 v16, vcc, s2, v1, s2
	v_mov_b32_e32 v19, 0x42947983
	v_fma_f32 v17, -v13, v15, 1.0
	v_fmac_f32_e32 v15, v17, v15
	v_mul_f32_e32 v17, v16, v15
	v_fma_f32 v18, -v13, v17, v16
	v_fmac_f32_e32 v17, v18, v15
	v_fma_f32 v13, -v13, v17, v16
	v_div_fmas_f32 v13, v13, v15, v17
	v_div_fixup_f32 v13, v13, v1, s2
	v_mul_f32_e32 v15, v13, v13
	v_mov_b32_e32 v16, 0x3a47c962
	v_mov_b32_e32 v17, 0x3a15c4d9
	v_fmac_f32_e32 v16, 0, v15
	v_fmac_f32_e32 v17, 0, v15
	v_fmaak_f32 v16, v15, v16, 0x3d95ca45
	v_fmaak_f32 v17, v15, v17, 0x3d8cfeeb
	;; [unrolled: 1-line block ×8, first 2 shown]
	v_mov_b32_e32 v18, 0x3d513fd3
	v_fmaak_f32 v16, v15, v16, 0x40a6dd51
	v_fmaak_f32 v17, v15, v17, 0x40a6b6ea
	v_fmac_f32_e32 v18, 0, v15
	v_fma_f32 v17, v15, v17, 1.0
	v_fmaak_f32 v18, v15, v18, 0x409f6dae
	v_fmac_f32_e32 v19, 0, v15
	v_fma_f32 v16, v15, v16, 1.0
	v_fmaak_f32 v18, v15, v18, 0x4297a5cd
	v_fmaak_f32 v19, v15, v19, 0x44840e5d
	v_div_scale_f32 v20, s[0:1], v17, v17, v16
	v_fmaak_f32 v18, v15, v18, 0x43b763ca
	v_fmaak_f32 v19, v15, v19, 0x459bd349
	v_rcp_f32_e32 v21, v20
	v_fmaak_f32 v18, v15, v18, 0x4431b6ce
	v_fmaak_f32 v19, v15, v19, 0x46156947
	;; [unrolled: 1-line block ×8, first 2 shown]
	v_fma_f32 v19, -v20, v21, 1.0
	v_fmac_f32_e32 v21, v19, v21
	v_div_scale_f32 v19, vcc, v16, v17, v16
	v_mul_f32_e32 v22, v19, v21
	v_fma_f32 v23, -v20, v22, v19
	v_fmac_f32_e32 v22, v23, v21
	v_fma_f32 v19, -v20, v22, v19
	v_div_fmas_f32 v19, v19, v21, v22
	v_div_fixup_f32 v16, v19, v17, v16
	v_mul_f32_e32 v17, v8, v8
	v_mov_b32_e32 v19, 0x3c0881c4
	v_fmamk_f32 v20, v17, 0xb94c1982, v19
	v_fmaak_f32 v20, v17, v20, 0xbe2aaa9d
	v_mul_f32_e32 v20, v17, v20
	v_fmac_f32_e32 v8, v8, v20
	v_mov_b32_e32 v20, 0xbab64f3b
	v_fmamk_f32 v22, v17, 0x37d75334, v20
	v_fmaak_f32 v22, v17, v22, 0x3d2aabf7
	v_fmaak_f32 v22, v17, v22, 0xbf000004
	v_fma_f32 v17, v17, v22, 1.0
	v_and_b32_e32 v22, 1, v7
	v_lshlrev_b32_e32 v7, 30, v7
	v_cmp_eq_u32_e32 vcc, 0, v22
	v_and_b32_e32 v7, 0x80000000, v7
	v_xor_b32_e32 v5, v5, v3
	v_cndmask_b32_e32 v8, v17, v8, vcc
	v_xor_b32_e32 v5, v5, v7
	v_div_scale_f32 v7, s[0:1], v15, v15, v18
	v_xor_b32_e32 v5, v5, v8
	v_rcp_f32_e32 v8, v7
	s_movk_i32 s3, 0x1f8
	v_mov_b32_e32 v17, 0x7fc00000
	v_cmp_class_f32_e64 s[0:1], v3, s3
	v_mov_b32_e32 v21, 0xbe2aaa9d
	v_mov_b32_e32 v23, 0x3d2aabf7
	v_cndmask_b32_e64 v3, v17, v5, s[0:1]
	v_fma_f32 v5, -v7, v8, 1.0
	v_fmac_f32_e32 v8, v5, v8
	v_div_scale_f32 v5, vcc, v18, v15, v18
	v_mul_f32_e32 v22, v5, v8
	v_fma_f32 v25, -v7, v22, v5
	v_fmac_f32_e32 v22, v25, v8
	v_fma_f32 v5, -v7, v22, v5
	v_mul_f32_e32 v7, v11, v11
	v_fmac_f32_e32 v19, 0xb94c1982, v7
	v_fmac_f32_e32 v21, v7, v19
	;; [unrolled: 1-line block ×3, first 2 shown]
	v_mov_b32_e32 v24, 0xbf000004
	v_div_fmas_f32 v5, v5, v8, v22
	v_mul_f32_e32 v8, v7, v21
	v_fmac_f32_e32 v23, v7, v20
	v_fmac_f32_e32 v11, v11, v8
	;; [unrolled: 1-line block ×3, first 2 shown]
	v_and_b32_e32 v8, 1, v9
	v_fma_f32 v7, v7, v24, 1.0
	v_cmp_eq_u32_e32 vcc, 0, v8
	s_brev_b32 s2, 1
	v_lshlrev_b32_e32 v8, 30, v9
	v_cndmask_b32_e64 v7, -v11, v7, vcc
	v_bitop3_b32 v7, v8, v7, s2 bitop3:0x6c
	v_cndmask_b32_e64 v7, v17, v7, s[0:1]
	s_mov_b32 s0, 0xf800000
	v_mul_f32_e32 v8, 0x4f800000, v1
	v_cmp_gt_f32_e32 vcc, s0, v1
	v_div_fixup_f32 v5, v5, v15, v18
	v_mul_f32_e32 v5, v13, v5
	v_cndmask_b32_e32 v1, v1, v8, vcc
	v_sqrt_f32_e32 v8, v1
	v_mul_f32_e32 v5, v5, v7
	v_fmac_f32_e32 v5, v16, v3
	v_mul_f32_e32 v3, 0x3f4c422a, v5
	v_add_u32_e32 v5, -1, v8
	v_fma_f32 v7, -v5, v8, v1
	v_cmp_ge_f32_e64 s[0:1], 0, v7
	v_add_u32_e32 v7, 1, v8
	s_nop 0
	v_cndmask_b32_e64 v5, v8, v5, s[0:1]
	v_fma_f32 v8, -v7, v8, v1
	v_cmp_lt_f32_e64 s[0:1], 0, v8
	s_nop 1
	v_cndmask_b32_e64 v5, v5, v7, s[0:1]
	v_mul_f32_e32 v7, 0x37800000, v5
	v_cndmask_b32_e32 v5, v5, v7, vcc
	v_mov_b32_e32 v7, 0x260
	v_cmp_class_f32_e32 vcc, v1, v7
	s_nop 1
	v_cndmask_b32_e32 v1, v5, v1, vcc
	v_div_scale_f32 v5, s[0:1], v1, v1, v3
	v_rcp_f32_e32 v7, v5
	s_nop 0
	v_fma_f32 v8, -v5, v7, 1.0
	v_fmac_f32_e32 v7, v8, v7
	v_div_scale_f32 v8, vcc, v3, v1, v3
	v_mul_f32_e32 v9, v8, v7
	v_fma_f32 v11, -v5, v9, v8
	v_fmac_f32_e32 v9, v11, v7
	v_fma_f32 v5, -v5, v9, v8
	v_div_fmas_f32 v5, v5, v7, v9
	v_div_fixup_f32 v8, v5, v1, v3
.LBB22_1351:
	s_or_b64 exec, exec, s[12:13]
	s_lshr_b32 s0, s18, 16
	v_mov_b32_e32 v11, 0
	s_and_b32 s19, s0, 0xff
	s_cmp_lt_i32 s19, 11
	v_lshl_add_u64 v[10:11], s[10:11], 0, v[10:11]
	s_cbranch_scc1 .LBB22_1358
; %bb.1352:
	s_and_b32 s16, 0xffff, s19
	s_cmp_gt_i32 s16, 25
	s_mov_b64 s[2:3], 0
	s_cbranch_scc0 .LBB22_1360
; %bb.1353:
	s_cmp_gt_i32 s16, 28
	s_cbranch_scc0 .LBB22_1361
; %bb.1354:
	s_cmp_gt_i32 s16, 43
	;; [unrolled: 3-line block ×3, first 2 shown]
	s_cbranch_scc0 .LBB22_1364
; %bb.1356:
	s_cmp_eq_u32 s16, 46
	s_mov_b64 s[12:13], 0
	s_cbranch_scc0 .LBB22_1367
; %bb.1357:
	global_load_dword v1, v[10:11], off
	s_mov_b64 s[0:1], 0
	s_mov_b64 s[4:5], -1
	s_waitcnt vmcnt(0)
	v_lshlrev_b32_e32 v1, 16, v1
	s_branch .LBB22_1368
.LBB22_1358:
	s_mov_b64 s[4:5], 0
                                        ; implicit-def: $vgpr1
	s_cbranch_execnz .LBB22_1433
.LBB22_1359:
	s_andn2_b64 vcc, exec, s[4:5]
	s_cbranch_vccnz .LBB22_1780
	s_branch .LBB22_1480
.LBB22_1360:
	s_mov_b64 s[4:5], 0
	s_mov_b64 s[0:1], 0
                                        ; implicit-def: $vgpr1
	s_cbranch_execnz .LBB22_1397
	s_branch .LBB22_1429
.LBB22_1361:
	s_mov_b64 s[12:13], -1
	s_mov_b64 s[4:5], 0
	s_mov_b64 s[0:1], 0
                                        ; implicit-def: $vgpr1
	s_branch .LBB22_1378
.LBB22_1362:
	s_mov_b64 s[12:13], -1
	s_mov_b64 s[4:5], 0
	s_mov_b64 s[0:1], 0
                                        ; implicit-def: $vgpr1
	s_branch .LBB22_1373
.LBB22_1363:
	s_or_b64 s[6:7], s[24:25], exec
	s_trap 2
	s_cbranch_execz .LBB22_1288
	s_branch .LBB22_1289
.LBB22_1364:
	s_mov_b64 s[12:13], -1
	s_mov_b64 s[4:5], 0
	s_mov_b64 s[0:1], 0
                                        ; implicit-def: $vgpr1
	s_branch .LBB22_1368
.LBB22_1365:
	s_andn2_saveexec_b64 s[14:15], s[14:15]
	s_cbranch_execz .LBB22_1079
.LBB22_1366:
	s_mov_b32 s18, 0x42800000
	v_add_f32_e64 v0, |v2|, s18
	v_and_b32_e32 v0, 0xff, v0
	v_cmp_ne_u32_e32 vcc, 0, v0
	s_andn2_b64 s[12:13], s[12:13], exec
	s_and_b64 s[18:19], vcc, exec
	s_or_b64 s[12:13], s[12:13], s[18:19]
	s_or_b64 exec, exec, s[14:15]
	v_mov_b32_e32 v1, 0
	s_and_saveexec_b64 s[14:15], s[12:13]
	s_cbranch_execnz .LBB22_1080
	s_branch .LBB22_1081
.LBB22_1367:
	s_mov_b64 s[0:1], -1
                                        ; implicit-def: $vgpr1
	s_mov_b64 s[4:5], 0
.LBB22_1368:
	s_and_b64 vcc, exec, s[12:13]
	s_cbranch_vccz .LBB22_1372
; %bb.1369:
	s_cmp_eq_u32 s16, 44
	s_cbranch_scc0 .LBB22_1371
; %bb.1370:
	global_load_ubyte v1, v[10:11], off
	s_movk_i32 s4, 0xff
	v_mov_b32_e32 v3, 0x7f800001
	v_mov_b32_e32 v5, 0x400000
	s_mov_b64 s[0:1], 0
	s_waitcnt vmcnt(0)
	v_lshlrev_b32_e32 v7, 23, v1
	v_cmp_ne_u32_e32 vcc, s4, v1
	s_mov_b64 s[4:5], -1
	s_nop 0
	v_cndmask_b32_e32 v3, v3, v7, vcc
	v_cmp_ne_u32_e32 vcc, 0, v1
	s_nop 1
	v_cndmask_b32_e32 v1, v5, v3, vcc
	s_branch .LBB22_1372
.LBB22_1371:
	s_mov_b64 s[0:1], -1
                                        ; implicit-def: $vgpr1
.LBB22_1372:
	s_mov_b64 s[12:13], 0
.LBB22_1373:
	s_and_b64 vcc, exec, s[12:13]
	s_cbranch_vccz .LBB22_1377
; %bb.1374:
	s_cmp_eq_u32 s16, 29
	s_cbranch_scc0 .LBB22_1376
; %bb.1375:
	global_load_dwordx2 v[16:17], v[10:11], off
	s_mov_b64 s[0:1], 0
	s_mov_b64 s[4:5], -1
	s_mov_b64 s[12:13], 0
	s_waitcnt vmcnt(0)
	v_ffbh_u32_e32 v1, v17
	v_min_u32_e32 v1, 32, v1
	v_lshlrev_b64 v[16:17], v1, v[16:17]
	v_min_u32_e32 v3, 1, v16
	v_or_b32_e32 v3, v17, v3
	v_cvt_f32_u32_e32 v3, v3
	v_sub_u32_e32 v1, 32, v1
	v_ldexp_f32 v1, v3, v1
	s_branch .LBB22_1378
.LBB22_1376:
	s_mov_b64 s[0:1], -1
                                        ; implicit-def: $vgpr1
.LBB22_1377:
	s_mov_b64 s[12:13], 0
.LBB22_1378:
	s_and_b64 vcc, exec, s[12:13]
	s_cbranch_vccz .LBB22_1396
; %bb.1379:
	s_cmp_lt_i32 s16, 27
	s_cbranch_scc1 .LBB22_1382
; %bb.1380:
	s_cmp_gt_i32 s16, 27
	s_cbranch_scc0 .LBB22_1383
; %bb.1381:
	global_load_dword v1, v[10:11], off
	s_mov_b64 s[4:5], 0
	s_waitcnt vmcnt(0)
	v_cvt_f32_u32_e32 v1, v1
	s_branch .LBB22_1384
.LBB22_1382:
	s_mov_b64 s[4:5], -1
                                        ; implicit-def: $vgpr1
	s_branch .LBB22_1387
.LBB22_1383:
	s_mov_b64 s[4:5], -1
                                        ; implicit-def: $vgpr1
.LBB22_1384:
	s_andn2_b64 vcc, exec, s[4:5]
	s_cbranch_vccnz .LBB22_1386
; %bb.1385:
	global_load_ushort v1, v[10:11], off
	s_waitcnt vmcnt(0)
	v_cvt_f32_u32_e32 v1, v1
.LBB22_1386:
	s_mov_b64 s[4:5], 0
.LBB22_1387:
	s_andn2_b64 vcc, exec, s[4:5]
	s_cbranch_vccnz .LBB22_1395
; %bb.1388:
	global_load_ubyte v3, v[10:11], off
	s_movk_i32 s4, 0x7f
	s_waitcnt vmcnt(0)
	v_cmp_lt_i16_e32 vcc, s4, v3
	s_mov_b64 s[4:5], 0
	s_and_saveexec_b64 s[12:13], vcc
	s_xor_b64 s[12:13], exec, s[12:13]
	s_cbranch_execz .LBB22_1408
; %bb.1389:
	s_movk_i32 s4, 0x80
	v_cmp_eq_u16_e32 vcc, s4, v3
	s_mov_b64 s[4:5], -1
	s_and_saveexec_b64 s[14:15], vcc
; %bb.1390:
	s_xor_b64 s[4:5], exec, -1
; %bb.1391:
	s_or_b64 exec, exec, s[14:15]
	s_and_b64 s[4:5], s[4:5], exec
	s_or_saveexec_b64 s[12:13], s[12:13]
	v_mov_b32_e32 v1, 0x7f800001
	s_xor_b64 exec, exec, s[12:13]
	s_cbranch_execnz .LBB22_1409
.LBB22_1392:
	s_or_b64 exec, exec, s[12:13]
	s_and_saveexec_b64 s[12:13], s[4:5]
	s_cbranch_execz .LBB22_1394
.LBB22_1393:
	v_lshlrev_b32_e32 v1, 24, v3
	v_and_b32_e32 v3, 0xffff, v3
	v_and_b32_e32 v5, 7, v3
	v_ffbh_u32_e32 v9, v5
	v_min_u32_e32 v9, 32, v9
	v_subrev_u32_e32 v13, 28, v9
	v_bfe_u32 v7, v3, 3, 4
	v_lshlrev_b32_e32 v3, v13, v3
	v_sub_u32_e32 v9, 29, v9
	v_and_b32_e32 v3, 7, v3
	v_cmp_eq_u32_e32 vcc, 0, v7
	v_and_b32_e32 v1, 0x80000000, v1
	s_nop 0
	v_cndmask_b32_e32 v7, v7, v9, vcc
	v_cndmask_b32_e32 v3, v5, v3, vcc
	v_mov_b32_e32 v5, 0x3b800000
	v_lshlrev_b32_e32 v3, 20, v3
	v_lshl_add_u32 v5, v7, 23, v5
	v_or3_b32 v1, v1, v5, v3
.LBB22_1394:
	s_or_b64 exec, exec, s[12:13]
.LBB22_1395:
	s_mov_b64 s[4:5], -1
.LBB22_1396:
	s_branch .LBB22_1429
.LBB22_1397:
	s_cmp_gt_i32 s16, 22
	s_cbranch_scc0 .LBB22_1407
; %bb.1398:
	s_cmp_lt_i32 s16, 24
	s_cbranch_scc1 .LBB22_1410
; %bb.1399:
	s_cmp_gt_i32 s16, 24
	s_cbranch_scc0 .LBB22_1411
; %bb.1400:
	global_load_ubyte v3, v[10:11], off
	s_movk_i32 s2, 0x7f
	s_waitcnt vmcnt(0)
	v_cmp_lt_i16_e32 vcc, s2, v3
	s_mov_b64 s[2:3], 0
	s_and_saveexec_b64 s[4:5], vcc
	s_xor_b64 s[4:5], exec, s[4:5]
	s_cbranch_execz .LBB22_1423
; %bb.1401:
	s_movk_i32 s2, 0x80
	v_cmp_eq_u16_e32 vcc, s2, v3
	s_mov_b64 s[2:3], -1
	s_and_saveexec_b64 s[12:13], vcc
; %bb.1402:
	s_xor_b64 s[2:3], exec, -1
; %bb.1403:
	s_or_b64 exec, exec, s[12:13]
	s_and_b64 s[2:3], s[2:3], exec
	s_or_saveexec_b64 s[4:5], s[4:5]
	v_mov_b32_e32 v1, 0x7f800001
	s_xor_b64 exec, exec, s[4:5]
	s_cbranch_execnz .LBB22_1424
.LBB22_1404:
	s_or_b64 exec, exec, s[4:5]
	s_and_saveexec_b64 s[4:5], s[2:3]
	s_cbranch_execz .LBB22_1406
.LBB22_1405:
	v_lshlrev_b32_e32 v1, 24, v3
	v_and_b32_e32 v3, 0xffff, v3
	v_and_b32_e32 v5, 3, v3
	v_ffbh_u32_e32 v9, v5
	v_min_u32_e32 v9, 32, v9
	v_subrev_u32_e32 v13, 29, v9
	v_bfe_u32 v7, v3, 2, 5
	v_lshlrev_b32_e32 v3, v13, v3
	v_sub_u32_e32 v9, 30, v9
	v_and_b32_e32 v3, 3, v3
	v_cmp_eq_u32_e32 vcc, 0, v7
	v_and_b32_e32 v1, 0x80000000, v1
	s_nop 0
	v_cndmask_b32_e32 v7, v7, v9, vcc
	v_cndmask_b32_e32 v3, v5, v3, vcc
	v_mov_b32_e32 v5, 0x37800000
	v_lshlrev_b32_e32 v3, 21, v3
	v_lshl_add_u32 v5, v7, 23, v5
	v_or3_b32 v1, v1, v5, v3
.LBB22_1406:
	s_or_b64 exec, exec, s[4:5]
	s_mov_b64 s[2:3], 0
	s_branch .LBB22_1412
.LBB22_1407:
	s_mov_b64 s[2:3], -1
                                        ; implicit-def: $vgpr1
	s_branch .LBB22_1418
.LBB22_1408:
	s_or_saveexec_b64 s[12:13], s[12:13]
	v_mov_b32_e32 v1, 0x7f800001
	s_xor_b64 exec, exec, s[12:13]
	s_cbranch_execz .LBB22_1392
.LBB22_1409:
	v_cmp_ne_u16_e32 vcc, 0, v3
	s_andn2_b64 s[4:5], s[4:5], exec
	s_and_b64 s[14:15], vcc, exec
	v_mov_b32_e32 v1, 0
	s_or_b64 s[4:5], s[4:5], s[14:15]
	s_or_b64 exec, exec, s[12:13]
	s_and_saveexec_b64 s[12:13], s[4:5]
	s_cbranch_execnz .LBB22_1393
	s_branch .LBB22_1394
.LBB22_1410:
	s_mov_b64 s[2:3], -1
                                        ; implicit-def: $vgpr1
	s_branch .LBB22_1415
.LBB22_1411:
	s_mov_b64 s[2:3], -1
                                        ; implicit-def: $vgpr1
.LBB22_1412:
	s_and_b64 vcc, exec, s[2:3]
	s_cbranch_vccz .LBB22_1414
; %bb.1413:
	global_load_ubyte v1, v[10:11], off
	s_mov_b32 s2, 0x7f800000
	s_waitcnt vmcnt(0)
	v_lshlrev_b32_e32 v1, 24, v1
	v_and_b32_e32 v3, 0x7f000000, v1
	v_ffbh_u32_e32 v5, v3
	v_min_u32_e32 v5, 32, v5
	v_sub_u32_e64 v5, v5, 4 clamp
	v_lshlrev_b32_e32 v9, v5, v3
	v_lshlrev_b32_e32 v5, 23, v5
	v_lshrrev_b32_e32 v9, 4, v9
	v_add_u32_e32 v7, 0x1000000, v3
	v_sub_u32_e32 v5, v9, v5
	v_ashrrev_i32_e32 v7, 8, v7
	v_add_u32_e32 v5, 0x3c000000, v5
	v_and_or_b32 v5, v7, s2, v5
	v_cmp_ne_u32_e32 vcc, 0, v3
	s_brev_b32 s2, 1
	s_nop 0
	v_cndmask_b32_e32 v3, 0, v5, vcc
	v_and_or_b32 v1, v1, s2, v3
.LBB22_1414:
	s_mov_b64 s[2:3], 0
.LBB22_1415:
	s_andn2_b64 vcc, exec, s[2:3]
	s_cbranch_vccnz .LBB22_1417
; %bb.1416:
	global_load_ubyte v1, v[10:11], off
	s_movk_i32 s2, 0x7f00
	s_brev_b32 s3, 16
	s_waitcnt vmcnt(0)
	v_lshlrev_b16_e32 v3, 8, v1
	v_lshlrev_b32_e32 v1, 25, v1
	v_lshrrev_b32_e32 v5, 4, v1
	v_and_or_b32 v7, v3, s2, 0.5
	v_or_b32_e32 v5, 0x70000000, v5
	v_add_f32_e32 v7, -0.5, v7
	v_mul_f32_e32 v5, 0x7800000, v5
	v_cmp_gt_u32_e32 vcc, s3, v1
	v_bfe_i32 v3, v3, 0, 16
	s_brev_b32 s2, 1
	v_cndmask_b32_e32 v1, v5, v7, vcc
	v_and_or_b32 v1, v3, s2, v1
.LBB22_1417:
	s_mov_b64 s[2:3], 0
	s_mov_b64 s[4:5], -1
.LBB22_1418:
	s_andn2_b64 vcc, exec, s[2:3]
	s_mov_b64 s[2:3], 0
	s_cbranch_vccnz .LBB22_1429
; %bb.1419:
	s_cmp_gt_i32 s16, 14
	s_cbranch_scc0 .LBB22_1422
; %bb.1420:
	s_cmp_eq_u32 s16, 15
	s_cbranch_scc0 .LBB22_1425
; %bb.1421:
	global_load_ushort v1, v[10:11], off
	s_mov_b64 s[0:1], 0
	s_mov_b64 s[4:5], -1
	s_waitcnt vmcnt(0)
	v_lshlrev_b32_e32 v1, 16, v1
	s_branch .LBB22_1426
.LBB22_1422:
	s_mov_b64 s[12:13], -1
                                        ; implicit-def: $vgpr1
	s_branch .LBB22_1427
.LBB22_1423:
	s_or_saveexec_b64 s[4:5], s[4:5]
	v_mov_b32_e32 v1, 0x7f800001
	s_xor_b64 exec, exec, s[4:5]
	s_cbranch_execz .LBB22_1404
.LBB22_1424:
	v_cmp_ne_u16_e32 vcc, 0, v3
	s_andn2_b64 s[2:3], s[2:3], exec
	s_and_b64 s[12:13], vcc, exec
	v_mov_b32_e32 v1, 0
	s_or_b64 s[2:3], s[2:3], s[12:13]
	s_or_b64 exec, exec, s[4:5]
	s_and_saveexec_b64 s[4:5], s[2:3]
	s_cbranch_execnz .LBB22_1405
	s_branch .LBB22_1406
.LBB22_1425:
	s_mov_b64 s[0:1], -1
                                        ; implicit-def: $vgpr1
.LBB22_1426:
	s_mov_b64 s[12:13], 0
.LBB22_1427:
	s_and_b64 vcc, exec, s[12:13]
	s_cbranch_vccz .LBB22_1429
; %bb.1428:
	s_cmp_lg_u32 s16, 11
	s_mov_b64 s[2:3], -1
	s_cselect_b64 s[0:1], -1, 0
.LBB22_1429:
	s_and_b64 vcc, exec, s[0:1]
	s_cbranch_vccnz .LBB22_1508
; %bb.1430:
	s_andn2_b64 vcc, exec, s[2:3]
	s_cbranch_vccnz .LBB22_1432
.LBB22_1431:
	global_load_ubyte v1, v[10:11], off
	s_mov_b64 s[4:5], -1
	s_waitcnt vmcnt(0)
	v_cmp_ne_u16_e32 vcc, 0, v1
	s_nop 1
	v_cndmask_b32_e64 v1, 0, 1.0, vcc
.LBB22_1432:
	s_branch .LBB22_1359
.LBB22_1433:
	s_and_b32 s2, 0xffff, s19
	s_cmp_lt_i32 s2, 5
	s_cbranch_scc1 .LBB22_1438
; %bb.1434:
	s_cmp_lt_i32 s2, 8
	s_cbranch_scc1 .LBB22_1439
; %bb.1435:
	;; [unrolled: 3-line block ×3, first 2 shown]
	s_cmp_gt_i32 s2, 9
	s_cbranch_scc0 .LBB22_1441
; %bb.1437:
	global_load_dwordx2 v[16:17], v[10:11], off
	s_mov_b64 s[0:1], 0
	s_waitcnt vmcnt(0)
	v_cvt_f32_f64_e32 v1, v[16:17]
	s_branch .LBB22_1442
.LBB22_1438:
                                        ; implicit-def: $vgpr1
	s_branch .LBB22_1460
.LBB22_1439:
	s_mov_b64 s[0:1], -1
                                        ; implicit-def: $vgpr1
	s_branch .LBB22_1448
.LBB22_1440:
	s_mov_b64 s[0:1], -1
                                        ; implicit-def: $vgpr1
	s_branch .LBB22_1445
.LBB22_1441:
	s_mov_b64 s[0:1], -1
                                        ; implicit-def: $vgpr1
.LBB22_1442:
	s_andn2_b64 vcc, exec, s[0:1]
	s_cbranch_vccnz .LBB22_1444
; %bb.1443:
	global_load_dword v1, v[10:11], off
.LBB22_1444:
	s_mov_b64 s[0:1], 0
.LBB22_1445:
	s_andn2_b64 vcc, exec, s[0:1]
	s_cbranch_vccnz .LBB22_1447
; %bb.1446:
	global_load_dword v1, v[10:11], off
	s_waitcnt vmcnt(0)
	v_cvt_f32_f16_e32 v1, v1
.LBB22_1447:
	s_mov_b64 s[0:1], 0
.LBB22_1448:
	s_andn2_b64 vcc, exec, s[0:1]
	s_cbranch_vccnz .LBB22_1459
; %bb.1449:
	s_cmp_lt_i32 s2, 6
	s_cbranch_scc1 .LBB22_1452
; %bb.1450:
	s_cmp_gt_i32 s2, 6
	s_cbranch_scc0 .LBB22_1453
; %bb.1451:
	global_load_dwordx2 v[16:17], v[10:11], off
	s_mov_b64 s[0:1], 0
	s_waitcnt vmcnt(0)
	v_cvt_f32_f64_e32 v1, v[16:17]
	s_branch .LBB22_1454
.LBB22_1452:
	s_mov_b64 s[0:1], -1
                                        ; implicit-def: $vgpr1
	s_branch .LBB22_1457
.LBB22_1453:
	s_mov_b64 s[0:1], -1
                                        ; implicit-def: $vgpr1
.LBB22_1454:
	s_andn2_b64 vcc, exec, s[0:1]
	s_cbranch_vccnz .LBB22_1456
; %bb.1455:
	global_load_dword v1, v[10:11], off
.LBB22_1456:
	s_mov_b64 s[0:1], 0
.LBB22_1457:
	s_andn2_b64 vcc, exec, s[0:1]
	s_cbranch_vccnz .LBB22_1459
; %bb.1458:
	global_load_ushort v1, v[10:11], off
	s_waitcnt vmcnt(0)
	v_cvt_f32_f16_e32 v1, v1
.LBB22_1459:
	s_cbranch_execnz .LBB22_1479
.LBB22_1460:
	s_cmp_lt_i32 s2, 2
	s_cbranch_scc1 .LBB22_1464
; %bb.1461:
	s_cmp_lt_i32 s2, 3
	s_cbranch_scc1 .LBB22_1465
; %bb.1462:
	s_cmp_gt_i32 s2, 3
	s_cbranch_scc0 .LBB22_1466
; %bb.1463:
	global_load_dwordx2 v[16:17], v[10:11], off
	s_mov_b64 s[0:1], 0
	s_waitcnt vmcnt(0)
	v_xor_b32_e32 v3, v16, v17
	v_ffbh_i32_e32 v1, v17
	v_ashrrev_i32_e32 v3, 31, v3
	v_add_u32_e32 v1, -1, v1
	v_add_u32_e32 v3, 32, v3
	v_min_u32_e32 v1, v1, v3
	v_lshlrev_b64 v[16:17], v1, v[16:17]
	v_min_u32_e32 v3, 1, v16
	v_or_b32_e32 v3, v17, v3
	v_cvt_f32_i32_e32 v3, v3
	v_sub_u32_e32 v1, 32, v1
	v_ldexp_f32 v1, v3, v1
	s_branch .LBB22_1467
.LBB22_1464:
	s_mov_b64 s[0:1], -1
                                        ; implicit-def: $vgpr1
	s_branch .LBB22_1473
.LBB22_1465:
	s_mov_b64 s[0:1], -1
                                        ; implicit-def: $vgpr1
	s_branch .LBB22_1470
.LBB22_1466:
	s_mov_b64 s[0:1], -1
                                        ; implicit-def: $vgpr1
.LBB22_1467:
	s_andn2_b64 vcc, exec, s[0:1]
	s_cbranch_vccnz .LBB22_1469
; %bb.1468:
	global_load_dword v1, v[10:11], off
	s_waitcnt vmcnt(0)
	v_cvt_f32_i32_e32 v1, v1
.LBB22_1469:
	s_mov_b64 s[0:1], 0
.LBB22_1470:
	s_andn2_b64 vcc, exec, s[0:1]
	s_cbranch_vccnz .LBB22_1472
; %bb.1471:
	global_load_sshort v1, v[10:11], off
	s_waitcnt vmcnt(0)
	v_cvt_f32_i32_e32 v1, v1
.LBB22_1472:
	s_mov_b64 s[0:1], 0
.LBB22_1473:
	s_andn2_b64 vcc, exec, s[0:1]
	s_cbranch_vccnz .LBB22_1479
; %bb.1474:
	s_cmp_gt_i32 s2, 0
	s_cbranch_scc0 .LBB22_1476
; %bb.1475:
	global_load_sbyte v1, v[10:11], off
	s_mov_b64 s[0:1], 0
	s_waitcnt vmcnt(0)
	v_cvt_f32_i32_e32 v1, v1
	s_branch .LBB22_1477
.LBB22_1476:
	s_mov_b64 s[0:1], -1
                                        ; implicit-def: $vgpr1
.LBB22_1477:
	s_andn2_b64 vcc, exec, s[0:1]
	s_cbranch_vccnz .LBB22_1479
; %bb.1478:
	global_load_ubyte v1, v[10:11], off
	s_waitcnt vmcnt(0)
	v_cvt_f32_ubyte0_e32 v1, v1
.LBB22_1479:
.LBB22_1480:
	s_mov_b32 s0, 0x40a00000
	s_waitcnt vmcnt(0)
	v_cmp_ge_f32_e32 vcc, s0, v1
                                        ; implicit-def: $vgpr10
	s_and_saveexec_b64 s[0:1], vcc
	s_xor_b64 s[2:3], exec, s[0:1]
	s_cbranch_execz .LBB22_1486
; %bb.1481:
	v_cmp_neq_f32_e32 vcc, 0, v1
	v_mov_b32_e32 v10, 0xff800000
	s_and_saveexec_b64 s[4:5], vcc
	s_cbranch_execz .LBB22_1485
; %bb.1482:
	v_cmp_nge_f32_e32 vcc, 0, v1
	v_mov_b32_e32 v10, 0x7fc00000
	s_and_saveexec_b64 s[12:13], vcc
	s_cbranch_execz .LBB22_1484
; %bb.1483:
	v_mul_f32_e32 v10, v1, v1
	v_mov_b32_e32 v3, 0x4414934d
	v_fmac_f32_e32 v3, 0, v10
	v_fmaak_f32 v3, v10, v3, 0x48660b06
	s_mov_b32 s0, 0x4e9695f3
	v_mul_f32_e32 v16, 0, v10
	v_mul_f32_e32 v17, v10, v3
	s_mov_b32 s1, 0x4c8c277d
	v_pk_add_f32 v[18:19], v[16:17], s[0:1]
	s_mov_b32 s0, 0xd316b96b
	s_mov_b32 s1, 0x508bc61d
	v_pk_fma_f32 v[18:19], v[10:11], v[18:19], s[0:1] op_sel_hi:[0,1,1]
	s_mov_b32 s0, 0x56d04aa6
	s_mov_b32 s1, 0x5461faf8
	v_pk_fma_f32 v[18:19], v[10:11], v[18:19], s[0:1] op_sel_hi:[0,1,1]
	s_mov_b32 s0, 0xd9e700d2
	s_mov_b32 s1, 0x580d1937
	v_pk_fma_f32 v[18:19], v[10:11], v[18:19], s[0:1] op_sel_hi:[0,1,1]
	s_mov_b32 s0, 0x5c33cd68
	s_mov_b32 s1, 0x5b741f1e
	v_pk_fma_f32 v[18:19], v[10:11], v[18:19], s[0:1] op_sel_hi:[0,1,1]
	s_mov_b32 s0, 0xdd2cf20b
	s_mov_b32 s1, 0x5e5c878d
	v_pk_fma_f32 v[18:19], v[10:11], v[18:19], s[0:1] op_sel_hi:[0,1,1]
	v_div_scale_f32 v3, s[0:1], v19, v19, v18
	v_rcp_f32_e32 v5, v3
	s_mov_b32 s0, 0xce5691e2
	s_mov_b32 s1, 0x548a37dc
	v_fma_f32 v7, -v3, v5, 1.0
	v_fmac_f32_e32 v5, v7, v5
	v_div_scale_f32 v7, vcc, v18, v19, v18
	v_mul_f32_e32 v9, v7, v5
	v_fma_f32 v11, -v3, v9, v7
	v_fmac_f32_e32 v9, v11, v5
	v_fma_f32 v3, -v3, v9, v7
	v_mov_b32_e32 v7, 0x441b3589
	v_fmac_f32_e32 v7, 0, v10
	v_fmaak_f32 v7, v10, v7, 0x487af6d0
	v_fmaak_f32 v7, v10, v7, 0x4c9f4aa7
	;; [unrolled: 1-line block ×3, first 2 shown]
	v_mul_f32_e32 v17, v10, v7
	v_pk_add_f32 v[16:17], v[16:17], s[0:1]
	s_mov_b32 s0, 0x52d295d0
	s_mov_b32 s1, 0x58325852
	v_pk_fma_f32 v[16:17], v[10:11], v[16:17], s[0:1] op_sel_hi:[0,1,1]
	s_mov_b32 s0, 0xd6845497
	s_mov_b32 s1, 0x5b9f0600
	v_pk_fma_f32 v[16:17], v[10:11], v[16:17], s[0:1] op_sel_hi:[0,1,1]
	;; [unrolled: 3-line block ×3, first 2 shown]
	v_div_scale_f32 v7, s[0:1], v17, v17, v16
	v_rcp_f32_e32 v11, v7
	v_div_fmas_f32 v3, v3, v5, v9
	s_mov_b32 s0, 0xc244dfb3
	s_mov_b32 s1, 0xc16ae95a
	v_fma_f32 v5, -v7, v11, 1.0
	v_fmac_f32_e32 v11, v5, v11
	v_div_scale_f32 v5, vcc, v16, v17, v16
	v_mul_f32_e32 v9, v5, v11
	v_fma_f32 v13, -v7, v9, v5
	v_fmac_f32_e32 v9, v13, v11
	v_fma_f32 v5, -v7, v9, v5
	v_div_fmas_f32 v5, v5, v11, v9
	v_pk_add_f32 v[10:11], v[10:11], s[0:1] op_sel_hi:[0,1]
	s_mov_b32 s0, 0x800000
	v_cmp_gt_f32_e32 vcc, s0, v1
	s_mov_b32 s0, 0x3f317217
	v_div_fixup_f32 v5, v5, v17, v16
	v_cndmask_b32_e64 v7, 0, 32, vcc
	v_ldexp_f32 v7, v1, v7
	v_log_f32_e32 v7, v7
	v_mul_f32_e32 v5, v1, v5
	v_mul_f32_e32 v5, v11, v5
	;; [unrolled: 1-line block ×4, first 2 shown]
	v_fma_f32 v9, v7, s0, -v9
	v_fmamk_f32 v9, v7, 0x3377d1cf, v9
	s_mov_b32 s0, 0x7f800000
	v_fmac_f32_e32 v9, 0x3f317217, v7
	v_cmp_lt_f32_e64 s[0:1], |v7|, s0
	v_mov_b32_e32 v11, 0x41b17218
	v_cndmask_b32_e32 v11, 0, v11, vcc
	v_cndmask_b32_e64 v7, v7, v9, s[0:1]
	v_div_scale_f32 v9, s[0:1], v1, v1, -1.0
	v_rcp_f32_e32 v10, v9
	v_sub_f32_e32 v7, v7, v11
	v_div_fixup_f32 v3, v3, v19, v18
	v_fma_f32 v11, -v9, v10, 1.0
	v_fmac_f32_e32 v10, v11, v10
	v_div_scale_f32 v11, vcc, -1.0, v1, -1.0
	v_mul_f32_e32 v13, v11, v10
	v_fma_f32 v15, -v9, v13, v11
	v_fmac_f32_e32 v13, v15, v10
	v_fma_f32 v9, -v9, v13, v11
	v_div_fmas_f32 v9, v9, v10, v13
	v_div_fixup_f32 v9, v9, v1, -1.0
	v_fmac_f32_e32 v9, v7, v5
	v_mul_f32_e32 v10, 0x3f22f983, v9
	v_fmac_f32_e32 v10, v1, v3
.LBB22_1484:
	s_or_b64 exec, exec, s[12:13]
.LBB22_1485:
	s_or_b64 exec, exec, s[4:5]
                                        ; implicit-def: $vgpr1
.LBB22_1486:
	s_andn2_saveexec_b64 s[12:13], s[2:3]
	s_cbranch_execz .LBB22_1496
; %bb.1487:
	v_add_f32_e32 v3, 0xc016cbe4, v1
	s_brev_b32 s0, 18
	v_and_b32_e32 v5, 0x7fffffff, v3
	v_cmp_nlt_f32_e64 s[14:15], |v3|, s0
                                        ; implicit-def: $vgpr7
                                        ; implicit-def: $vgpr9
	s_and_saveexec_b64 s[0:1], s[14:15]
	s_xor_b64 s[16:17], exec, s[0:1]
	s_cbranch_execz .LBB22_1489
; %bb.1488:
	v_lshrrev_b32_e32 v7, 23, v5
	v_add_u32_e32 v7, 0xffffff88, v7
	v_not_b32_e32 v9, 63
	v_cmp_lt_u32_e32 vcc, 63, v7
	s_mov_b32 s4, 0xfe5163ab
	v_mov_b32_e32 v17, 0
	v_cndmask_b32_e32 v9, 0, v9, vcc
	v_add_u32_e32 v7, v9, v7
	v_not_b32_e32 v9, 31
	v_cmp_lt_u32_e64 s[0:1], 31, v7
	s_nop 1
	v_cndmask_b32_e64 v10, 0, v9, s[0:1]
	v_add_u32_e32 v7, v10, v7
	v_cmp_lt_u32_e64 s[2:3], 31, v7
	s_nop 1
	v_cndmask_b32_e64 v9, 0, v9, s[2:3]
	v_add_u32_e32 v7, v9, v7
	v_and_b32_e32 v9, 0x7fffff, v5
	v_or_b32_e32 v9, 0x800000, v9
	v_mad_u64_u32 v[10:11], s[4:5], v9, s4, 0
	v_mov_b32_e32 v16, v11
	s_mov_b32 s4, 0x3c439041
	v_mad_u64_u32 v[18:19], s[4:5], v9, s4, v[16:17]
	v_mov_b32_e32 v16, v19
	s_mov_b32 s4, 0xdb629599
	;; [unrolled: 3-line block ×6, first 2 shown]
	v_mad_u64_u32 v[16:17], s[4:5], v9, s4, v[16:17]
	v_cndmask_b32_e32 v11, v26, v22, vcc
	v_cndmask_b32_e32 v9, v16, v24, vcc
	;; [unrolled: 1-line block ×3, first 2 shown]
	v_cndmask_b32_e64 v13, v9, v11, s[0:1]
	v_cndmask_b32_e64 v9, v15, v9, s[0:1]
	v_cndmask_b32_e32 v15, v24, v20, vcc
	v_cndmask_b32_e64 v11, v11, v15, s[0:1]
	v_cndmask_b32_e64 v9, v9, v13, s[2:3]
	;; [unrolled: 1-line block ×3, first 2 shown]
	v_sub_u32_e32 v16, 32, v7
	v_alignbit_b32 v17, v9, v13, v16
	v_cmp_eq_u32_e64 s[4:5], 0, v7
	v_cndmask_b32_e32 v10, v20, v10, vcc
	s_nop 0
	v_cndmask_b32_e64 v7, v17, v9, s[4:5]
	v_cndmask_b32_e32 v9, v22, v18, vcc
	v_cndmask_b32_e64 v15, v15, v9, s[0:1]
	v_cndmask_b32_e64 v11, v11, v15, s[2:3]
	v_alignbit_b32 v17, v13, v11, v16
	v_cndmask_b32_e64 v9, v9, v10, s[0:1]
	v_cndmask_b32_e64 v13, v17, v13, s[4:5]
	v_bfe_u32 v19, v7, 29, 1
	v_cndmask_b32_e64 v9, v15, v9, s[2:3]
	v_alignbit_b32 v17, v7, v13, 30
	v_sub_u32_e32 v21, 0, v19
	v_alignbit_b32 v10, v11, v9, v16
	v_xor_b32_e32 v17, v17, v21
	v_cndmask_b32_e64 v10, v10, v11, s[4:5]
	v_alignbit_b32 v11, v13, v10, 30
	v_ffbh_u32_e32 v13, v17
	v_min_u32_e32 v13, 32, v13
	v_alignbit_b32 v9, v10, v9, 30
	v_xor_b32_e32 v11, v11, v21
	v_sub_u32_e32 v15, 31, v13
	v_xor_b32_e32 v9, v9, v21
	v_alignbit_b32 v16, v17, v11, v15
	v_alignbit_b32 v9, v11, v9, v15
	;; [unrolled: 1-line block ×3, first 2 shown]
	v_ffbh_u32_e32 v11, v10
	v_min_u32_e32 v11, 32, v11
	v_lshrrev_b32_e32 v18, 29, v7
	v_not_b32_e32 v15, v11
	v_alignbit_b32 v9, v10, v9, v15
	v_lshlrev_b32_e32 v10, 31, v18
	v_or_b32_e32 v15, 0x33000000, v10
	v_add_lshl_u32 v11, v11, v13, 23
	v_lshrrev_b32_e32 v9, 9, v9
	v_sub_u32_e32 v11, v15, v11
	v_or_b32_e32 v10, 0.5, v10
	v_lshlrev_b32_e32 v13, 23, v13
	v_or_b32_e32 v9, v11, v9
	v_lshrrev_b32_e32 v11, 9, v16
	v_sub_u32_e32 v10, v10, v13
	v_or_b32_e32 v10, v11, v10
	s_mov_b32 s0, 0x3fc90fda
	v_mul_f32_e32 v11, 0x3fc90fda, v10
	v_fma_f32 v13, v10, s0, -v11
	v_fmamk_f32 v10, v10, 0x33a22168, v13
	v_fmac_f32_e32 v10, 0x3fc90fda, v9
	v_lshrrev_b32_e32 v7, 30, v7
	v_add_f32_e32 v9, v11, v10
	v_add_u32_e32 v7, v19, v7
	s_andn2_saveexec_b64 s[0:1], s[16:17]
	s_cbranch_execz .LBB22_1491
	s_branch .LBB22_1490
.LBB22_1489:
	s_andn2_saveexec_b64 s[0:1], s[16:17]
	s_cbranch_execz .LBB22_1491
.LBB22_1490:
	s_mov_b32 s2, 0x3f22f983
	v_mul_f32_e64 v7, |v3|, s2
	v_rndne_f32_e32 v9, v7
	s_mov_b32 s2, 0xbfc90fda
	v_cvt_i32_f32_e32 v7, v9
	v_fma_f32 v10, v9, s2, |v3|
	v_fmamk_f32 v10, v9, 0xb3a22168, v10
	v_fmamk_f32 v9, v9, 0xa7c234c4, v10
.LBB22_1491:
	s_or_b64 exec, exec, s[0:1]
                                        ; implicit-def: $vgpr10
                                        ; implicit-def: $vgpr11
	s_and_saveexec_b64 s[0:1], s[14:15]
	s_xor_b64 s[14:15], exec, s[0:1]
	s_cbranch_execz .LBB22_1493
; %bb.1492:
	v_lshrrev_b32_e32 v10, 23, v5
	v_add_u32_e32 v10, 0xffffff88, v10
	v_not_b32_e32 v11, 63
	v_cmp_lt_u32_e32 vcc, 63, v10
	s_mov_b32 s4, 0xfe5163ab
	v_mov_b32_e32 v17, 0
	v_cndmask_b32_e32 v11, 0, v11, vcc
	v_add_u32_e32 v10, v11, v10
	v_not_b32_e32 v11, 31
	v_cmp_lt_u32_e64 s[0:1], 31, v10
	s_nop 1
	v_cndmask_b32_e64 v13, 0, v11, s[0:1]
	v_add_u32_e32 v10, v13, v10
	v_cmp_lt_u32_e64 s[2:3], 31, v10
	s_nop 1
	v_cndmask_b32_e64 v11, 0, v11, s[2:3]
	v_add_u32_e32 v13, v11, v10
	v_and_b32_e32 v10, 0x7fffff, v5
	v_or_b32_e32 v15, 0x800000, v10
	v_mad_u64_u32 v[10:11], s[4:5], v15, s4, 0
	v_mov_b32_e32 v16, v11
	s_mov_b32 s4, 0x3c439041
	v_mad_u64_u32 v[18:19], s[4:5], v15, s4, v[16:17]
	v_mov_b32_e32 v16, v19
	s_mov_b32 s4, 0xdb629599
	;; [unrolled: 3-line block ×6, first 2 shown]
	v_mad_u64_u32 v[16:17], s[4:5], v15, s4, v[16:17]
	v_cndmask_b32_e32 v11, v26, v22, vcc
	v_cndmask_b32_e32 v15, v16, v24, vcc
	v_cndmask_b32_e32 v17, v17, v26, vcc
	v_cndmask_b32_e64 v16, v15, v11, s[0:1]
	v_cndmask_b32_e64 v15, v17, v15, s[0:1]
	v_cndmask_b32_e32 v17, v24, v20, vcc
	v_cndmask_b32_e64 v11, v11, v17, s[0:1]
	v_cndmask_b32_e64 v15, v15, v16, s[2:3]
	;; [unrolled: 1-line block ×3, first 2 shown]
	v_sub_u32_e32 v19, 32, v13
	v_alignbit_b32 v21, v15, v16, v19
	v_cmp_eq_u32_e64 s[4:5], 0, v13
	v_cndmask_b32_e32 v10, v20, v10, vcc
	s_nop 0
	v_cndmask_b32_e64 v13, v21, v15, s[4:5]
	v_cndmask_b32_e32 v15, v22, v18, vcc
	v_cndmask_b32_e64 v17, v17, v15, s[0:1]
	v_cndmask_b32_e64 v11, v11, v17, s[2:3]
	v_alignbit_b32 v18, v16, v11, v19
	v_cndmask_b32_e64 v10, v15, v10, s[0:1]
	v_cndmask_b32_e64 v16, v18, v16, s[4:5]
	v_bfe_u32 v22, v13, 29, 1
	v_cndmask_b32_e64 v10, v17, v10, s[2:3]
	v_alignbit_b32 v18, v13, v16, 30
	v_sub_u32_e32 v23, 0, v22
	v_alignbit_b32 v15, v11, v10, v19
	v_xor_b32_e32 v18, v18, v23
	v_cndmask_b32_e64 v11, v15, v11, s[4:5]
	v_alignbit_b32 v15, v16, v11, 30
	v_ffbh_u32_e32 v16, v18
	v_min_u32_e32 v16, 32, v16
	v_alignbit_b32 v10, v11, v10, 30
	v_xor_b32_e32 v15, v15, v23
	v_sub_u32_e32 v17, 31, v16
	v_xor_b32_e32 v10, v10, v23
	v_alignbit_b32 v18, v18, v15, v17
	v_alignbit_b32 v10, v15, v10, v17
	;; [unrolled: 1-line block ×3, first 2 shown]
	v_ffbh_u32_e32 v15, v11
	v_min_u32_e32 v15, 32, v15
	v_lshrrev_b32_e32 v21, 29, v13
	v_not_b32_e32 v17, v15
	v_alignbit_b32 v10, v11, v10, v17
	v_lshlrev_b32_e32 v11, 31, v21
	v_or_b32_e32 v17, 0x33000000, v11
	v_add_lshl_u32 v15, v15, v16, 23
	v_lshrrev_b32_e32 v10, 9, v10
	v_sub_u32_e32 v15, v17, v15
	v_or_b32_e32 v11, 0.5, v11
	v_lshlrev_b32_e32 v16, 23, v16
	v_or_b32_e32 v10, v15, v10
	v_lshrrev_b32_e32 v15, 9, v18
	v_sub_u32_e32 v11, v11, v16
	v_or_b32_e32 v11, v15, v11
	s_mov_b32 s0, 0x3fc90fda
	v_mul_f32_e32 v15, 0x3fc90fda, v11
	v_fma_f32 v16, v11, s0, -v15
	v_fmamk_f32 v11, v11, 0x33a22168, v16
	v_fmac_f32_e32 v11, 0x3fc90fda, v10
	v_lshrrev_b32_e32 v10, 30, v13
	v_add_f32_e32 v11, v15, v11
	v_add_u32_e32 v10, v22, v10
	s_andn2_saveexec_b64 s[0:1], s[14:15]
	s_cbranch_execnz .LBB22_1494
	s_branch .LBB22_1495
.LBB22_1493:
	s_andn2_saveexec_b64 s[0:1], s[14:15]
	s_cbranch_execz .LBB22_1495
.LBB22_1494:
	s_mov_b32 s2, 0x3f22f983
	v_mul_f32_e64 v10, |v3|, s2
	v_rndne_f32_e32 v11, v10
	s_mov_b32 s2, 0xbfc90fda
	v_cvt_i32_f32_e32 v10, v11
	v_fma_f32 v13, v11, s2, |v3|
	v_fmamk_f32 v13, v11, 0xb3a22168, v13
	v_fmamk_f32 v11, v11, 0xa7c234c4, v13
.LBB22_1495:
	s_or_b64 exec, exec, s[0:1]
	s_mov_b32 s2, 0x40a00000
	v_div_scale_f32 v13, s[0:1], v1, v1, s2
	v_rcp_f32_e32 v15, v13
	v_div_scale_f32 v16, vcc, s2, v1, s2
	v_mov_b32_e32 v19, 0x42947983
	v_fma_f32 v17, -v13, v15, 1.0
	v_fmac_f32_e32 v15, v17, v15
	v_mul_f32_e32 v17, v16, v15
	v_fma_f32 v18, -v13, v17, v16
	v_fmac_f32_e32 v17, v18, v15
	v_fma_f32 v13, -v13, v17, v16
	v_div_fmas_f32 v13, v13, v15, v17
	v_div_fixup_f32 v13, v13, v1, s2
	v_mul_f32_e32 v15, v13, v13
	v_mov_b32_e32 v16, 0x3a47c962
	v_mov_b32_e32 v17, 0x3a15c4d9
	v_fmac_f32_e32 v16, 0, v15
	v_fmac_f32_e32 v17, 0, v15
	v_fmaak_f32 v16, v15, v16, 0x3d95ca45
	v_fmaak_f32 v17, v15, v17, 0x3d8cfeeb
	;; [unrolled: 1-line block ×8, first 2 shown]
	v_mov_b32_e32 v18, 0x3d513fd3
	v_fmaak_f32 v16, v15, v16, 0x40a6dd51
	v_fmaak_f32 v17, v15, v17, 0x40a6b6ea
	v_fmac_f32_e32 v18, 0, v15
	v_fma_f32 v17, v15, v17, 1.0
	v_fmaak_f32 v18, v15, v18, 0x409f6dae
	v_fmac_f32_e32 v19, 0, v15
	v_fma_f32 v16, v15, v16, 1.0
	v_fmaak_f32 v18, v15, v18, 0x4297a5cd
	v_fmaak_f32 v19, v15, v19, 0x44840e5d
	v_div_scale_f32 v20, s[0:1], v17, v17, v16
	v_fmaak_f32 v18, v15, v18, 0x43b763ca
	v_fmaak_f32 v19, v15, v19, 0x459bd349
	v_rcp_f32_e32 v21, v20
	v_fmaak_f32 v18, v15, v18, 0x4431b6ce
	v_fmaak_f32 v19, v15, v19, 0x46156947
	;; [unrolled: 1-line block ×8, first 2 shown]
	v_fma_f32 v19, -v20, v21, 1.0
	v_fmac_f32_e32 v21, v19, v21
	v_div_scale_f32 v19, vcc, v16, v17, v16
	v_mul_f32_e32 v22, v19, v21
	v_fma_f32 v23, -v20, v22, v19
	v_fmac_f32_e32 v22, v23, v21
	v_fma_f32 v19, -v20, v22, v19
	v_div_fmas_f32 v19, v19, v21, v22
	v_div_fixup_f32 v16, v19, v17, v16
	v_mul_f32_e32 v17, v9, v9
	v_mov_b32_e32 v19, 0x3c0881c4
	v_fmamk_f32 v20, v17, 0xb94c1982, v19
	v_fmaak_f32 v20, v17, v20, 0xbe2aaa9d
	v_mul_f32_e32 v20, v17, v20
	v_fmac_f32_e32 v9, v9, v20
	v_mov_b32_e32 v20, 0xbab64f3b
	v_fmamk_f32 v22, v17, 0x37d75334, v20
	v_fmaak_f32 v22, v17, v22, 0x3d2aabf7
	v_fmaak_f32 v22, v17, v22, 0xbf000004
	v_fma_f32 v17, v17, v22, 1.0
	v_and_b32_e32 v22, 1, v7
	v_lshlrev_b32_e32 v7, 30, v7
	v_cmp_eq_u32_e32 vcc, 0, v22
	v_and_b32_e32 v7, 0x80000000, v7
	v_xor_b32_e32 v5, v5, v3
	v_cndmask_b32_e32 v9, v17, v9, vcc
	v_xor_b32_e32 v5, v5, v7
	v_div_scale_f32 v7, s[0:1], v15, v15, v18
	v_xor_b32_e32 v5, v5, v9
	v_rcp_f32_e32 v9, v7
	s_movk_i32 s3, 0x1f8
	v_mov_b32_e32 v17, 0x7fc00000
	v_cmp_class_f32_e64 s[0:1], v3, s3
	v_mov_b32_e32 v21, 0xbe2aaa9d
	v_mov_b32_e32 v23, 0x3d2aabf7
	v_cndmask_b32_e64 v3, v17, v5, s[0:1]
	v_fma_f32 v5, -v7, v9, 1.0
	v_fmac_f32_e32 v9, v5, v9
	v_div_scale_f32 v5, vcc, v18, v15, v18
	v_mul_f32_e32 v22, v5, v9
	v_fma_f32 v25, -v7, v22, v5
	v_fmac_f32_e32 v22, v25, v9
	v_fma_f32 v5, -v7, v22, v5
	v_mul_f32_e32 v7, v11, v11
	v_fmac_f32_e32 v19, 0xb94c1982, v7
	v_fmac_f32_e32 v21, v7, v19
	;; [unrolled: 1-line block ×3, first 2 shown]
	v_mov_b32_e32 v24, 0xbf000004
	v_div_fmas_f32 v5, v5, v9, v22
	v_mul_f32_e32 v9, v7, v21
	v_fmac_f32_e32 v23, v7, v20
	v_fmac_f32_e32 v11, v11, v9
	;; [unrolled: 1-line block ×3, first 2 shown]
	v_and_b32_e32 v9, 1, v10
	v_fma_f32 v7, v7, v24, 1.0
	v_cmp_eq_u32_e32 vcc, 0, v9
	s_brev_b32 s2, 1
	v_lshlrev_b32_e32 v9, 30, v10
	v_cndmask_b32_e64 v7, -v11, v7, vcc
	v_bitop3_b32 v7, v9, v7, s2 bitop3:0x6c
	v_cndmask_b32_e64 v7, v17, v7, s[0:1]
	s_mov_b32 s0, 0xf800000
	v_mul_f32_e32 v9, 0x4f800000, v1
	v_cmp_gt_f32_e32 vcc, s0, v1
	v_div_fixup_f32 v5, v5, v15, v18
	v_mul_f32_e32 v5, v13, v5
	v_cndmask_b32_e32 v1, v1, v9, vcc
	v_sqrt_f32_e32 v9, v1
	v_mul_f32_e32 v5, v5, v7
	v_fmac_f32_e32 v5, v16, v3
	v_mul_f32_e32 v3, 0x3f4c422a, v5
	v_add_u32_e32 v5, -1, v9
	v_fma_f32 v7, -v5, v9, v1
	v_cmp_ge_f32_e64 s[0:1], 0, v7
	v_add_u32_e32 v7, 1, v9
	s_nop 0
	v_cndmask_b32_e64 v5, v9, v5, s[0:1]
	v_fma_f32 v9, -v7, v9, v1
	v_cmp_lt_f32_e64 s[0:1], 0, v9
	s_nop 1
	v_cndmask_b32_e64 v5, v5, v7, s[0:1]
	v_mul_f32_e32 v7, 0x37800000, v5
	v_cndmask_b32_e32 v5, v5, v7, vcc
	v_mov_b32_e32 v7, 0x260
	v_cmp_class_f32_e32 vcc, v1, v7
	s_nop 1
	v_cndmask_b32_e32 v1, v5, v1, vcc
	v_div_scale_f32 v5, s[0:1], v1, v1, v3
	v_rcp_f32_e32 v7, v5
	s_nop 0
	v_fma_f32 v9, -v5, v7, 1.0
	v_fmac_f32_e32 v7, v9, v7
	v_div_scale_f32 v9, vcc, v3, v1, v3
	v_mul_f32_e32 v10, v9, v7
	v_fma_f32 v11, -v5, v10, v9
	v_fmac_f32_e32 v10, v11, v7
	v_fma_f32 v5, -v5, v10, v9
	v_div_fmas_f32 v5, v5, v7, v10
	v_div_fixup_f32 v10, v5, v1, v3
.LBB22_1496:
	s_or_b64 exec, exec, s[12:13]
	v_mov_b32_e32 v15, 0
	s_cmp_lt_i32 s19, 11
	v_lshl_add_u64 v[14:15], s[10:11], 0, v[14:15]
	s_cbranch_scc1 .LBB22_1503
; %bb.1497:
	s_and_b32 s16, 0xffff, s19
	s_cmp_gt_i32 s16, 25
	s_mov_b64 s[2:3], 0
	s_cbranch_scc0 .LBB22_1505
; %bb.1498:
	s_cmp_gt_i32 s16, 28
	s_cbranch_scc0 .LBB22_1506
; %bb.1499:
	s_cmp_gt_i32 s16, 43
	;; [unrolled: 3-line block ×3, first 2 shown]
	s_cbranch_scc0 .LBB22_1509
; %bb.1501:
	s_cmp_eq_u32 s16, 46
	s_mov_b64 s[12:13], 0
	s_cbranch_scc0 .LBB22_1510
; %bb.1502:
	global_load_dword v1, v[14:15], off
	s_mov_b64 s[0:1], 0
	s_mov_b64 s[4:5], -1
	s_waitcnt vmcnt(0)
	v_lshlrev_b32_e32 v1, 16, v1
	s_branch .LBB22_1511
.LBB22_1503:
	s_mov_b64 s[4:5], 0
                                        ; implicit-def: $vgpr1
	s_cbranch_execnz .LBB22_1577
.LBB22_1504:
	s_andn2_b64 vcc, exec, s[4:5]
	s_cbranch_vccnz .LBB22_1780
	s_branch .LBB22_1625
.LBB22_1505:
	s_mov_b64 s[12:13], -1
	s_mov_b64 s[4:5], 0
	s_mov_b64 s[0:1], 0
                                        ; implicit-def: $vgpr1
	s_branch .LBB22_1540
.LBB22_1506:
	s_mov_b64 s[12:13], -1
	s_mov_b64 s[4:5], 0
	s_mov_b64 s[0:1], 0
                                        ; implicit-def: $vgpr1
	s_branch .LBB22_1521
.LBB22_1507:
	s_mov_b64 s[12:13], -1
	s_mov_b64 s[4:5], 0
	s_mov_b64 s[0:1], 0
                                        ; implicit-def: $vgpr1
	s_branch .LBB22_1516
.LBB22_1508:
	s_trap 2
	s_or_b64 s[6:7], s[6:7], exec
	s_cbranch_execz .LBB22_1431
	s_branch .LBB22_1432
.LBB22_1509:
	s_mov_b64 s[12:13], -1
	s_mov_b64 s[4:5], 0
	s_mov_b64 s[0:1], 0
                                        ; implicit-def: $vgpr1
	s_branch .LBB22_1511
.LBB22_1510:
	s_mov_b64 s[0:1], -1
                                        ; implicit-def: $vgpr1
	s_mov_b64 s[4:5], 0
.LBB22_1511:
	s_and_b64 vcc, exec, s[12:13]
	s_cbranch_vccz .LBB22_1515
; %bb.1512:
	s_cmp_eq_u32 s16, 44
	s_cbranch_scc0 .LBB22_1514
; %bb.1513:
	global_load_ubyte v1, v[14:15], off
	s_movk_i32 s4, 0xff
	v_mov_b32_e32 v3, 0x7f800001
	v_mov_b32_e32 v5, 0x400000
	s_mov_b64 s[0:1], 0
	s_waitcnt vmcnt(0)
	v_lshlrev_b32_e32 v7, 23, v1
	v_cmp_ne_u32_e32 vcc, s4, v1
	s_mov_b64 s[4:5], -1
	s_nop 0
	v_cndmask_b32_e32 v3, v3, v7, vcc
	v_cmp_ne_u32_e32 vcc, 0, v1
	s_nop 1
	v_cndmask_b32_e32 v1, v5, v3, vcc
	s_branch .LBB22_1515
.LBB22_1514:
	s_mov_b64 s[0:1], -1
                                        ; implicit-def: $vgpr1
.LBB22_1515:
	s_mov_b64 s[12:13], 0
.LBB22_1516:
	s_and_b64 vcc, exec, s[12:13]
	s_cbranch_vccz .LBB22_1520
; %bb.1517:
	s_cmp_eq_u32 s16, 29
	s_cbranch_scc0 .LBB22_1519
; %bb.1518:
	global_load_dwordx2 v[16:17], v[14:15], off
	s_mov_b64 s[0:1], 0
	s_mov_b64 s[4:5], -1
	s_mov_b64 s[12:13], 0
	s_waitcnt vmcnt(0)
	v_ffbh_u32_e32 v1, v17
	v_min_u32_e32 v1, 32, v1
	v_lshlrev_b64 v[16:17], v1, v[16:17]
	v_min_u32_e32 v3, 1, v16
	v_or_b32_e32 v3, v17, v3
	v_cvt_f32_u32_e32 v3, v3
	v_sub_u32_e32 v1, 32, v1
	v_ldexp_f32 v1, v3, v1
	s_branch .LBB22_1521
.LBB22_1519:
	s_mov_b64 s[0:1], -1
                                        ; implicit-def: $vgpr1
.LBB22_1520:
	s_mov_b64 s[12:13], 0
.LBB22_1521:
	s_and_b64 vcc, exec, s[12:13]
	s_cbranch_vccz .LBB22_1539
; %bb.1522:
	s_cmp_lt_i32 s16, 27
	s_cbranch_scc1 .LBB22_1525
; %bb.1523:
	s_cmp_gt_i32 s16, 27
	s_cbranch_scc0 .LBB22_1526
; %bb.1524:
	global_load_dword v1, v[14:15], off
	s_mov_b64 s[4:5], 0
	s_waitcnt vmcnt(0)
	v_cvt_f32_u32_e32 v1, v1
	s_branch .LBB22_1527
.LBB22_1525:
	s_mov_b64 s[4:5], -1
                                        ; implicit-def: $vgpr1
	s_branch .LBB22_1530
.LBB22_1526:
	s_mov_b64 s[4:5], -1
                                        ; implicit-def: $vgpr1
.LBB22_1527:
	s_andn2_b64 vcc, exec, s[4:5]
	s_cbranch_vccnz .LBB22_1529
; %bb.1528:
	global_load_ushort v1, v[14:15], off
	s_waitcnt vmcnt(0)
	v_cvt_f32_u32_e32 v1, v1
.LBB22_1529:
	s_mov_b64 s[4:5], 0
.LBB22_1530:
	s_andn2_b64 vcc, exec, s[4:5]
	s_cbranch_vccnz .LBB22_1538
; %bb.1531:
	global_load_ubyte v3, v[14:15], off
	s_movk_i32 s4, 0x7f
	s_waitcnt vmcnt(0)
	v_cmp_lt_i16_e32 vcc, s4, v3
	s_mov_b64 s[4:5], 0
	s_and_saveexec_b64 s[12:13], vcc
	s_xor_b64 s[12:13], exec, s[12:13]
	s_cbranch_execz .LBB22_1552
; %bb.1532:
	s_movk_i32 s4, 0x80
	v_cmp_eq_u16_e32 vcc, s4, v3
	s_mov_b64 s[4:5], -1
	s_and_saveexec_b64 s[14:15], vcc
; %bb.1533:
	s_xor_b64 s[4:5], exec, -1
; %bb.1534:
	s_or_b64 exec, exec, s[14:15]
	s_and_b64 s[4:5], s[4:5], exec
	s_or_saveexec_b64 s[12:13], s[12:13]
	v_mov_b32_e32 v1, 0x7f800001
	s_xor_b64 exec, exec, s[12:13]
	s_cbranch_execnz .LBB22_1553
.LBB22_1535:
	s_or_b64 exec, exec, s[12:13]
	s_and_saveexec_b64 s[12:13], s[4:5]
	s_cbranch_execz .LBB22_1537
.LBB22_1536:
	v_lshlrev_b32_e32 v1, 24, v3
	v_and_b32_e32 v3, 0xffff, v3
	v_and_b32_e32 v5, 7, v3
	v_ffbh_u32_e32 v9, v5
	v_min_u32_e32 v9, 32, v9
	v_subrev_u32_e32 v11, 28, v9
	v_bfe_u32 v7, v3, 3, 4
	v_lshlrev_b32_e32 v3, v11, v3
	v_sub_u32_e32 v9, 29, v9
	v_and_b32_e32 v3, 7, v3
	v_cmp_eq_u32_e32 vcc, 0, v7
	v_and_b32_e32 v1, 0x80000000, v1
	s_nop 0
	v_cndmask_b32_e32 v7, v7, v9, vcc
	v_cndmask_b32_e32 v3, v5, v3, vcc
	v_mov_b32_e32 v5, 0x3b800000
	v_lshlrev_b32_e32 v3, 20, v3
	v_lshl_add_u32 v5, v7, 23, v5
	v_or3_b32 v1, v1, v5, v3
.LBB22_1537:
	s_or_b64 exec, exec, s[12:13]
.LBB22_1538:
	s_mov_b64 s[4:5], -1
.LBB22_1539:
	s_mov_b64 s[12:13], 0
.LBB22_1540:
	s_and_b64 vcc, exec, s[12:13]
	s_cbranch_vccz .LBB22_1573
; %bb.1541:
	s_cmp_gt_i32 s16, 22
	s_cbranch_scc0 .LBB22_1551
; %bb.1542:
	s_cmp_lt_i32 s16, 24
	s_cbranch_scc1 .LBB22_1554
; %bb.1543:
	s_cmp_gt_i32 s16, 24
	s_cbranch_scc0 .LBB22_1555
; %bb.1544:
	global_load_ubyte v3, v[14:15], off
	s_movk_i32 s2, 0x7f
	s_waitcnt vmcnt(0)
	v_cmp_lt_i16_e32 vcc, s2, v3
	s_mov_b64 s[2:3], 0
	s_and_saveexec_b64 s[4:5], vcc
	s_xor_b64 s[4:5], exec, s[4:5]
	s_cbranch_execz .LBB22_1567
; %bb.1545:
	s_movk_i32 s2, 0x80
	v_cmp_eq_u16_e32 vcc, s2, v3
	s_mov_b64 s[2:3], -1
	s_and_saveexec_b64 s[12:13], vcc
; %bb.1546:
	s_xor_b64 s[2:3], exec, -1
; %bb.1547:
	s_or_b64 exec, exec, s[12:13]
	s_and_b64 s[2:3], s[2:3], exec
	s_or_saveexec_b64 s[4:5], s[4:5]
	v_mov_b32_e32 v1, 0x7f800001
	s_xor_b64 exec, exec, s[4:5]
	s_cbranch_execnz .LBB22_1568
.LBB22_1548:
	s_or_b64 exec, exec, s[4:5]
	s_and_saveexec_b64 s[4:5], s[2:3]
	s_cbranch_execz .LBB22_1550
.LBB22_1549:
	v_lshlrev_b32_e32 v1, 24, v3
	v_and_b32_e32 v3, 0xffff, v3
	v_and_b32_e32 v5, 3, v3
	v_ffbh_u32_e32 v9, v5
	v_min_u32_e32 v9, 32, v9
	v_subrev_u32_e32 v11, 29, v9
	v_bfe_u32 v7, v3, 2, 5
	v_lshlrev_b32_e32 v3, v11, v3
	v_sub_u32_e32 v9, 30, v9
	v_and_b32_e32 v3, 3, v3
	v_cmp_eq_u32_e32 vcc, 0, v7
	v_and_b32_e32 v1, 0x80000000, v1
	s_nop 0
	v_cndmask_b32_e32 v7, v7, v9, vcc
	v_cndmask_b32_e32 v3, v5, v3, vcc
	v_mov_b32_e32 v5, 0x37800000
	v_lshlrev_b32_e32 v3, 21, v3
	v_lshl_add_u32 v5, v7, 23, v5
	v_or3_b32 v1, v1, v5, v3
.LBB22_1550:
	s_or_b64 exec, exec, s[4:5]
	s_mov_b64 s[2:3], 0
	s_branch .LBB22_1556
.LBB22_1551:
	s_mov_b64 s[2:3], -1
                                        ; implicit-def: $vgpr1
	s_branch .LBB22_1562
.LBB22_1552:
	s_or_saveexec_b64 s[12:13], s[12:13]
	v_mov_b32_e32 v1, 0x7f800001
	s_xor_b64 exec, exec, s[12:13]
	s_cbranch_execz .LBB22_1535
.LBB22_1553:
	v_cmp_ne_u16_e32 vcc, 0, v3
	s_andn2_b64 s[4:5], s[4:5], exec
	s_and_b64 s[14:15], vcc, exec
	v_mov_b32_e32 v1, 0
	s_or_b64 s[4:5], s[4:5], s[14:15]
	s_or_b64 exec, exec, s[12:13]
	s_and_saveexec_b64 s[12:13], s[4:5]
	s_cbranch_execnz .LBB22_1536
	s_branch .LBB22_1537
.LBB22_1554:
	s_mov_b64 s[2:3], -1
                                        ; implicit-def: $vgpr1
	s_branch .LBB22_1559
.LBB22_1555:
	s_mov_b64 s[2:3], -1
                                        ; implicit-def: $vgpr1
.LBB22_1556:
	s_and_b64 vcc, exec, s[2:3]
	s_cbranch_vccz .LBB22_1558
; %bb.1557:
	global_load_ubyte v1, v[14:15], off
	s_mov_b32 s2, 0x7f800000
	s_waitcnt vmcnt(0)
	v_lshlrev_b32_e32 v1, 24, v1
	v_and_b32_e32 v3, 0x7f000000, v1
	v_ffbh_u32_e32 v5, v3
	v_min_u32_e32 v5, 32, v5
	v_sub_u32_e64 v5, v5, 4 clamp
	v_lshlrev_b32_e32 v9, v5, v3
	v_lshlrev_b32_e32 v5, 23, v5
	v_lshrrev_b32_e32 v9, 4, v9
	v_add_u32_e32 v7, 0x1000000, v3
	v_sub_u32_e32 v5, v9, v5
	v_ashrrev_i32_e32 v7, 8, v7
	v_add_u32_e32 v5, 0x3c000000, v5
	v_and_or_b32 v5, v7, s2, v5
	v_cmp_ne_u32_e32 vcc, 0, v3
	s_brev_b32 s2, 1
	s_nop 0
	v_cndmask_b32_e32 v3, 0, v5, vcc
	v_and_or_b32 v1, v1, s2, v3
.LBB22_1558:
	s_mov_b64 s[2:3], 0
.LBB22_1559:
	s_andn2_b64 vcc, exec, s[2:3]
	s_cbranch_vccnz .LBB22_1561
; %bb.1560:
	global_load_ubyte v1, v[14:15], off
	s_movk_i32 s2, 0x7f00
	s_brev_b32 s3, 16
	s_waitcnt vmcnt(0)
	v_lshlrev_b16_e32 v3, 8, v1
	v_lshlrev_b32_e32 v1, 25, v1
	v_lshrrev_b32_e32 v5, 4, v1
	v_and_or_b32 v7, v3, s2, 0.5
	v_or_b32_e32 v5, 0x70000000, v5
	v_add_f32_e32 v7, -0.5, v7
	v_mul_f32_e32 v5, 0x7800000, v5
	v_cmp_gt_u32_e32 vcc, s3, v1
	v_bfe_i32 v3, v3, 0, 16
	s_brev_b32 s2, 1
	v_cndmask_b32_e32 v1, v5, v7, vcc
	v_and_or_b32 v1, v3, s2, v1
.LBB22_1561:
	s_mov_b64 s[2:3], 0
	s_mov_b64 s[4:5], -1
.LBB22_1562:
	s_andn2_b64 vcc, exec, s[2:3]
	s_mov_b64 s[2:3], 0
	s_cbranch_vccnz .LBB22_1573
; %bb.1563:
	s_cmp_gt_i32 s16, 14
	s_cbranch_scc0 .LBB22_1566
; %bb.1564:
	s_cmp_eq_u32 s16, 15
	s_cbranch_scc0 .LBB22_1569
; %bb.1565:
	global_load_ushort v1, v[14:15], off
	s_mov_b64 s[0:1], 0
	s_mov_b64 s[4:5], -1
	s_waitcnt vmcnt(0)
	v_lshlrev_b32_e32 v1, 16, v1
	s_branch .LBB22_1570
.LBB22_1566:
	s_mov_b64 s[12:13], -1
                                        ; implicit-def: $vgpr1
	s_branch .LBB22_1571
.LBB22_1567:
	s_or_saveexec_b64 s[4:5], s[4:5]
	v_mov_b32_e32 v1, 0x7f800001
	s_xor_b64 exec, exec, s[4:5]
	s_cbranch_execz .LBB22_1548
.LBB22_1568:
	v_cmp_ne_u16_e32 vcc, 0, v3
	s_andn2_b64 s[2:3], s[2:3], exec
	s_and_b64 s[12:13], vcc, exec
	v_mov_b32_e32 v1, 0
	s_or_b64 s[2:3], s[2:3], s[12:13]
	s_or_b64 exec, exec, s[4:5]
	s_and_saveexec_b64 s[4:5], s[2:3]
	s_cbranch_execnz .LBB22_1549
	s_branch .LBB22_1550
.LBB22_1569:
	s_mov_b64 s[0:1], -1
                                        ; implicit-def: $vgpr1
.LBB22_1570:
	s_mov_b64 s[12:13], 0
.LBB22_1571:
	s_and_b64 vcc, exec, s[12:13]
	s_cbranch_vccz .LBB22_1573
; %bb.1572:
	s_cmp_lg_u32 s16, 11
	s_mov_b64 s[2:3], -1
	s_cselect_b64 s[0:1], -1, 0
.LBB22_1573:
	s_and_b64 vcc, exec, s[0:1]
	s_cbranch_vccnz .LBB22_1652
; %bb.1574:
	s_andn2_b64 vcc, exec, s[2:3]
	s_cbranch_vccnz .LBB22_1576
.LBB22_1575:
	global_load_ubyte v1, v[14:15], off
	s_mov_b64 s[4:5], -1
	s_waitcnt vmcnt(0)
	v_cmp_ne_u16_e32 vcc, 0, v1
	s_nop 1
	v_cndmask_b32_e64 v1, 0, 1.0, vcc
.LBB22_1576:
	s_branch .LBB22_1504
.LBB22_1577:
	s_and_b32 s2, 0xffff, s19
	s_cmp_lt_i32 s2, 5
	s_cbranch_scc1 .LBB22_1582
; %bb.1578:
	s_cmp_lt_i32 s2, 8
	s_cbranch_scc1 .LBB22_1583
; %bb.1579:
	s_cmp_lt_i32 s2, 9
	s_cbranch_scc1 .LBB22_1584
; %bb.1580:
	s_cmp_gt_i32 s2, 9
	s_cbranch_scc0 .LBB22_1585
; %bb.1581:
	global_load_dwordx2 v[16:17], v[14:15], off
	s_mov_b64 s[0:1], 0
	s_waitcnt vmcnt(0)
	v_cvt_f32_f64_e32 v1, v[16:17]
	s_branch .LBB22_1586
.LBB22_1582:
	s_mov_b64 s[0:1], -1
                                        ; implicit-def: $vgpr1
	s_branch .LBB22_1604
.LBB22_1583:
	s_mov_b64 s[0:1], -1
                                        ; implicit-def: $vgpr1
	s_branch .LBB22_1592
.LBB22_1584:
	s_mov_b64 s[0:1], -1
                                        ; implicit-def: $vgpr1
	s_branch .LBB22_1589
.LBB22_1585:
	s_mov_b64 s[0:1], -1
                                        ; implicit-def: $vgpr1
.LBB22_1586:
	s_andn2_b64 vcc, exec, s[0:1]
	s_cbranch_vccnz .LBB22_1588
; %bb.1587:
	global_load_dword v1, v[14:15], off
.LBB22_1588:
	s_mov_b64 s[0:1], 0
.LBB22_1589:
	s_andn2_b64 vcc, exec, s[0:1]
	s_cbranch_vccnz .LBB22_1591
; %bb.1590:
	global_load_dword v1, v[14:15], off
	s_waitcnt vmcnt(0)
	v_cvt_f32_f16_e32 v1, v1
.LBB22_1591:
	s_mov_b64 s[0:1], 0
.LBB22_1592:
	s_andn2_b64 vcc, exec, s[0:1]
	s_cbranch_vccnz .LBB22_1603
; %bb.1593:
	s_cmp_lt_i32 s2, 6
	s_cbranch_scc1 .LBB22_1596
; %bb.1594:
	s_cmp_gt_i32 s2, 6
	s_cbranch_scc0 .LBB22_1597
; %bb.1595:
	global_load_dwordx2 v[16:17], v[14:15], off
	s_mov_b64 s[0:1], 0
	s_waitcnt vmcnt(0)
	v_cvt_f32_f64_e32 v1, v[16:17]
	s_branch .LBB22_1598
.LBB22_1596:
	s_mov_b64 s[0:1], -1
                                        ; implicit-def: $vgpr1
	s_branch .LBB22_1601
.LBB22_1597:
	s_mov_b64 s[0:1], -1
                                        ; implicit-def: $vgpr1
.LBB22_1598:
	s_andn2_b64 vcc, exec, s[0:1]
	s_cbranch_vccnz .LBB22_1600
; %bb.1599:
	global_load_dword v1, v[14:15], off
.LBB22_1600:
	s_mov_b64 s[0:1], 0
.LBB22_1601:
	s_andn2_b64 vcc, exec, s[0:1]
	s_cbranch_vccnz .LBB22_1603
; %bb.1602:
	global_load_ushort v1, v[14:15], off
	s_waitcnt vmcnt(0)
	v_cvt_f32_f16_e32 v1, v1
.LBB22_1603:
	s_mov_b64 s[0:1], 0
.LBB22_1604:
	s_andn2_b64 vcc, exec, s[0:1]
	s_cbranch_vccnz .LBB22_1624
; %bb.1605:
	s_cmp_lt_i32 s2, 2
	s_cbranch_scc1 .LBB22_1609
; %bb.1606:
	s_cmp_lt_i32 s2, 3
	s_cbranch_scc1 .LBB22_1610
; %bb.1607:
	s_cmp_gt_i32 s2, 3
	s_cbranch_scc0 .LBB22_1611
; %bb.1608:
	global_load_dwordx2 v[16:17], v[14:15], off
	s_mov_b64 s[0:1], 0
	s_waitcnt vmcnt(0)
	v_xor_b32_e32 v3, v16, v17
	v_ffbh_i32_e32 v1, v17
	v_ashrrev_i32_e32 v3, 31, v3
	v_add_u32_e32 v1, -1, v1
	v_add_u32_e32 v3, 32, v3
	v_min_u32_e32 v1, v1, v3
	v_lshlrev_b64 v[16:17], v1, v[16:17]
	v_min_u32_e32 v3, 1, v16
	v_or_b32_e32 v3, v17, v3
	v_cvt_f32_i32_e32 v3, v3
	v_sub_u32_e32 v1, 32, v1
	v_ldexp_f32 v1, v3, v1
	s_branch .LBB22_1612
.LBB22_1609:
	s_mov_b64 s[0:1], -1
                                        ; implicit-def: $vgpr1
	s_branch .LBB22_1618
.LBB22_1610:
	s_mov_b64 s[0:1], -1
                                        ; implicit-def: $vgpr1
	s_branch .LBB22_1615
.LBB22_1611:
	s_mov_b64 s[0:1], -1
                                        ; implicit-def: $vgpr1
.LBB22_1612:
	s_andn2_b64 vcc, exec, s[0:1]
	s_cbranch_vccnz .LBB22_1614
; %bb.1613:
	global_load_dword v1, v[14:15], off
	s_waitcnt vmcnt(0)
	v_cvt_f32_i32_e32 v1, v1
.LBB22_1614:
	s_mov_b64 s[0:1], 0
.LBB22_1615:
	s_andn2_b64 vcc, exec, s[0:1]
	s_cbranch_vccnz .LBB22_1617
; %bb.1616:
	global_load_sshort v1, v[14:15], off
	s_waitcnt vmcnt(0)
	v_cvt_f32_i32_e32 v1, v1
.LBB22_1617:
	s_mov_b64 s[0:1], 0
.LBB22_1618:
	s_andn2_b64 vcc, exec, s[0:1]
	s_cbranch_vccnz .LBB22_1624
; %bb.1619:
	s_cmp_gt_i32 s2, 0
	s_cbranch_scc0 .LBB22_1621
; %bb.1620:
	global_load_sbyte v1, v[14:15], off
	s_mov_b64 s[0:1], 0
	s_waitcnt vmcnt(0)
	v_cvt_f32_i32_e32 v1, v1
	s_branch .LBB22_1622
.LBB22_1621:
	s_mov_b64 s[0:1], -1
                                        ; implicit-def: $vgpr1
.LBB22_1622:
	s_andn2_b64 vcc, exec, s[0:1]
	s_cbranch_vccnz .LBB22_1624
; %bb.1623:
	global_load_ubyte v1, v[14:15], off
	s_waitcnt vmcnt(0)
	v_cvt_f32_ubyte0_e32 v1, v1
.LBB22_1624:
.LBB22_1625:
	s_mov_b32 s0, 0x40a00000
	s_waitcnt vmcnt(0)
	v_cmp_ge_f32_e32 vcc, s0, v1
                                        ; implicit-def: $vgpr14
	s_and_saveexec_b64 s[0:1], vcc
	s_xor_b64 s[2:3], exec, s[0:1]
	s_cbranch_execz .LBB22_1631
; %bb.1626:
	v_cmp_neq_f32_e32 vcc, 0, v1
	v_mov_b32_e32 v14, 0xff800000
	s_and_saveexec_b64 s[4:5], vcc
	s_cbranch_execz .LBB22_1630
; %bb.1627:
	v_cmp_nge_f32_e32 vcc, 0, v1
	v_mov_b32_e32 v14, 0x7fc00000
	s_and_saveexec_b64 s[12:13], vcc
	s_cbranch_execz .LBB22_1629
; %bb.1628:
	v_mul_f32_e32 v14, v1, v1
	v_mov_b32_e32 v3, 0x4414934d
	v_fmac_f32_e32 v3, 0, v14
	v_fmaak_f32 v3, v14, v3, 0x48660b06
	s_mov_b32 s0, 0x4e9695f3
	v_mul_f32_e32 v16, 0, v14
	v_mul_f32_e32 v17, v14, v3
	s_mov_b32 s1, 0x4c8c277d
	v_pk_add_f32 v[18:19], v[16:17], s[0:1]
	s_mov_b32 s0, 0xd316b96b
	s_mov_b32 s1, 0x508bc61d
	v_pk_fma_f32 v[18:19], v[14:15], v[18:19], s[0:1] op_sel_hi:[0,1,1]
	s_mov_b32 s0, 0x56d04aa6
	s_mov_b32 s1, 0x5461faf8
	v_pk_fma_f32 v[18:19], v[14:15], v[18:19], s[0:1] op_sel_hi:[0,1,1]
	;; [unrolled: 3-line block ×5, first 2 shown]
	v_div_scale_f32 v3, s[0:1], v19, v19, v18
	v_rcp_f32_e32 v5, v3
	s_mov_b32 s0, 0xce5691e2
	s_mov_b32 s1, 0x548a37dc
	v_fma_f32 v7, -v3, v5, 1.0
	v_fmac_f32_e32 v5, v7, v5
	v_div_scale_f32 v7, vcc, v18, v19, v18
	v_mul_f32_e32 v9, v7, v5
	v_fma_f32 v11, -v3, v9, v7
	v_fmac_f32_e32 v9, v11, v5
	v_fma_f32 v3, -v3, v9, v7
	v_mov_b32_e32 v7, 0x441b3589
	v_fmac_f32_e32 v7, 0, v14
	v_fmaak_f32 v7, v14, v7, 0x487af6d0
	v_fmaak_f32 v7, v14, v7, 0x4c9f4aa7
	;; [unrolled: 1-line block ×3, first 2 shown]
	v_mul_f32_e32 v17, v14, v7
	v_pk_add_f32 v[16:17], v[16:17], s[0:1]
	s_mov_b32 s0, 0x52d295d0
	s_mov_b32 s1, 0x58325852
	v_pk_fma_f32 v[16:17], v[14:15], v[16:17], s[0:1] op_sel_hi:[0,1,1]
	s_mov_b32 s0, 0xd6845497
	s_mov_b32 s1, 0x5b9f0600
	v_pk_fma_f32 v[16:17], v[14:15], v[16:17], s[0:1] op_sel_hi:[0,1,1]
	;; [unrolled: 3-line block ×3, first 2 shown]
	v_div_scale_f32 v7, s[0:1], v17, v17, v16
	v_rcp_f32_e32 v11, v7
	v_div_fmas_f32 v3, v3, v5, v9
	s_mov_b32 s0, 0xc244dfb3
	s_mov_b32 s1, 0xc16ae95a
	v_fma_f32 v5, -v7, v11, 1.0
	v_fmac_f32_e32 v11, v5, v11
	v_div_scale_f32 v5, vcc, v16, v17, v16
	v_mul_f32_e32 v9, v5, v11
	v_fma_f32 v13, -v7, v9, v5
	v_fmac_f32_e32 v9, v13, v11
	v_fma_f32 v5, -v7, v9, v5
	v_pk_add_f32 v[14:15], v[14:15], s[0:1] op_sel_hi:[0,1]
	s_mov_b32 s0, 0x800000
	v_div_fmas_f32 v5, v5, v11, v9
	v_cmp_gt_f32_e32 vcc, s0, v1
	s_mov_b32 s0, 0x3f317217
	v_mov_b32_e32 v13, 0x41b17218
	v_cndmask_b32_e64 v7, 0, 32, vcc
	v_ldexp_f32 v7, v1, v7
	v_log_f32_e32 v7, v7
	v_div_fixup_f32 v5, v5, v17, v16
	v_cndmask_b32_e32 v13, 0, v13, vcc
	v_mul_f32_e32 v5, v1, v5
	v_mul_f32_e32 v9, 0x3f317217, v7
	v_fma_f32 v9, v7, s0, -v9
	v_fmamk_f32 v9, v7, 0x3377d1cf, v9
	s_mov_b32 s0, 0x7f800000
	v_fmac_f32_e32 v9, 0x3f317217, v7
	v_cmp_lt_f32_e64 s[0:1], |v7|, s0
	v_mul_f32_e32 v5, v15, v5
	v_mul_f32_e32 v5, v14, v5
	v_cndmask_b32_e64 v7, v7, v9, s[0:1]
	v_div_scale_f32 v9, s[0:1], v1, v1, -1.0
	v_rcp_f32_e32 v11, v9
	v_sub_f32_e32 v7, v7, v13
	v_div_fixup_f32 v3, v3, v19, v18
	v_fma_f32 v13, -v9, v11, 1.0
	v_fmac_f32_e32 v11, v13, v11
	v_div_scale_f32 v13, vcc, -1.0, v1, -1.0
	v_mul_f32_e32 v14, v13, v11
	v_fma_f32 v15, -v9, v14, v13
	v_fmac_f32_e32 v14, v15, v11
	v_fma_f32 v9, -v9, v14, v13
	v_div_fmas_f32 v9, v9, v11, v14
	v_div_fixup_f32 v9, v9, v1, -1.0
	v_fmac_f32_e32 v9, v7, v5
	v_mul_f32_e32 v14, 0x3f22f983, v9
	v_fmac_f32_e32 v14, v1, v3
.LBB22_1629:
	s_or_b64 exec, exec, s[12:13]
.LBB22_1630:
	s_or_b64 exec, exec, s[4:5]
                                        ; implicit-def: $vgpr1
.LBB22_1631:
	s_andn2_saveexec_b64 s[12:13], s[2:3]
	s_cbranch_execz .LBB22_1641
; %bb.1632:
	v_add_f32_e32 v3, 0xc016cbe4, v1
	s_brev_b32 s0, 18
	v_and_b32_e32 v5, 0x7fffffff, v3
	v_cmp_nlt_f32_e64 s[14:15], |v3|, s0
                                        ; implicit-def: $vgpr7
                                        ; implicit-def: $vgpr9
	s_and_saveexec_b64 s[0:1], s[14:15]
	s_xor_b64 s[16:17], exec, s[0:1]
	s_cbranch_execz .LBB22_1634
; %bb.1633:
	v_lshrrev_b32_e32 v7, 23, v5
	v_add_u32_e32 v7, 0xffffff88, v7
	v_not_b32_e32 v9, 63
	v_cmp_lt_u32_e32 vcc, 63, v7
	s_mov_b32 s4, 0xfe5163ab
	v_mov_b32_e32 v17, 0
	v_cndmask_b32_e32 v9, 0, v9, vcc
	v_add_u32_e32 v7, v9, v7
	v_not_b32_e32 v9, 31
	v_cmp_lt_u32_e64 s[0:1], 31, v7
	s_nop 1
	v_cndmask_b32_e64 v11, 0, v9, s[0:1]
	v_add_u32_e32 v7, v11, v7
	v_cmp_lt_u32_e64 s[2:3], 31, v7
	s_nop 1
	v_cndmask_b32_e64 v9, 0, v9, s[2:3]
	v_add_u32_e32 v7, v9, v7
	v_and_b32_e32 v9, 0x7fffff, v5
	v_or_b32_e32 v9, 0x800000, v9
	v_mad_u64_u32 v[14:15], s[4:5], v9, s4, 0
	v_mov_b32_e32 v16, v15
	s_mov_b32 s4, 0x3c439041
	v_mad_u64_u32 v[18:19], s[4:5], v9, s4, v[16:17]
	v_mov_b32_e32 v16, v19
	s_mov_b32 s4, 0xdb629599
	;; [unrolled: 3-line block ×6, first 2 shown]
	v_mad_u64_u32 v[16:17], s[4:5], v9, s4, v[16:17]
	v_cndmask_b32_e32 v11, v26, v22, vcc
	v_cndmask_b32_e32 v9, v16, v24, vcc
	;; [unrolled: 1-line block ×3, first 2 shown]
	v_cndmask_b32_e64 v13, v9, v11, s[0:1]
	v_cndmask_b32_e64 v9, v15, v9, s[0:1]
	v_cndmask_b32_e32 v15, v24, v20, vcc
	v_cndmask_b32_e64 v11, v11, v15, s[0:1]
	v_cndmask_b32_e64 v9, v9, v13, s[2:3]
	v_cndmask_b32_e64 v13, v13, v11, s[2:3]
	v_sub_u32_e32 v16, 32, v7
	v_alignbit_b32 v17, v9, v13, v16
	v_cmp_eq_u32_e64 s[4:5], 0, v7
	v_cndmask_b32_e32 v14, v20, v14, vcc
	s_nop 0
	v_cndmask_b32_e64 v7, v17, v9, s[4:5]
	v_cndmask_b32_e32 v9, v22, v18, vcc
	v_cndmask_b32_e64 v15, v15, v9, s[0:1]
	v_cndmask_b32_e64 v11, v11, v15, s[2:3]
	v_alignbit_b32 v17, v13, v11, v16
	v_cndmask_b32_e64 v13, v17, v13, s[4:5]
	v_bfe_u32 v19, v7, 29, 1
	v_cndmask_b32_e64 v9, v9, v14, s[0:1]
	v_alignbit_b32 v17, v7, v13, 30
	v_sub_u32_e32 v21, 0, v19
	v_cndmask_b32_e64 v9, v15, v9, s[2:3]
	v_xor_b32_e32 v17, v17, v21
	v_alignbit_b32 v14, v11, v9, v16
	v_cndmask_b32_e64 v11, v14, v11, s[4:5]
	v_ffbh_u32_e32 v14, v17
	v_alignbit_b32 v13, v13, v11, 30
	v_min_u32_e32 v14, 32, v14
	v_alignbit_b32 v9, v11, v9, 30
	v_xor_b32_e32 v13, v13, v21
	v_sub_u32_e32 v15, 31, v14
	v_xor_b32_e32 v9, v9, v21
	v_alignbit_b32 v16, v17, v13, v15
	v_alignbit_b32 v9, v13, v9, v15
	;; [unrolled: 1-line block ×3, first 2 shown]
	v_ffbh_u32_e32 v13, v11
	v_min_u32_e32 v13, 32, v13
	v_lshrrev_b32_e32 v18, 29, v7
	v_not_b32_e32 v15, v13
	v_alignbit_b32 v9, v11, v9, v15
	v_lshlrev_b32_e32 v11, 31, v18
	v_or_b32_e32 v15, 0x33000000, v11
	v_add_lshl_u32 v13, v13, v14, 23
	v_lshrrev_b32_e32 v9, 9, v9
	v_sub_u32_e32 v13, v15, v13
	v_or_b32_e32 v11, 0.5, v11
	v_lshlrev_b32_e32 v14, 23, v14
	v_or_b32_e32 v9, v13, v9
	v_lshrrev_b32_e32 v13, 9, v16
	v_sub_u32_e32 v11, v11, v14
	v_or_b32_e32 v11, v13, v11
	s_mov_b32 s0, 0x3fc90fda
	v_mul_f32_e32 v13, 0x3fc90fda, v11
	v_fma_f32 v14, v11, s0, -v13
	v_fmamk_f32 v11, v11, 0x33a22168, v14
	v_fmac_f32_e32 v11, 0x3fc90fda, v9
	v_lshrrev_b32_e32 v7, 30, v7
	v_add_f32_e32 v9, v13, v11
	v_add_u32_e32 v7, v19, v7
	s_andn2_saveexec_b64 s[0:1], s[16:17]
	s_cbranch_execz .LBB22_1636
	s_branch .LBB22_1635
.LBB22_1634:
	s_andn2_saveexec_b64 s[0:1], s[16:17]
	s_cbranch_execz .LBB22_1636
.LBB22_1635:
	s_mov_b32 s2, 0x3f22f983
	v_mul_f32_e64 v7, |v3|, s2
	v_rndne_f32_e32 v9, v7
	s_mov_b32 s2, 0xbfc90fda
	v_cvt_i32_f32_e32 v7, v9
	v_fma_f32 v11, v9, s2, |v3|
	v_fmamk_f32 v11, v9, 0xb3a22168, v11
	v_fmamk_f32 v9, v9, 0xa7c234c4, v11
.LBB22_1636:
	s_or_b64 exec, exec, s[0:1]
                                        ; implicit-def: $vgpr11
                                        ; implicit-def: $vgpr13
	s_and_saveexec_b64 s[0:1], s[14:15]
	s_xor_b64 s[14:15], exec, s[0:1]
	s_cbranch_execz .LBB22_1638
; %bb.1637:
	v_lshrrev_b32_e32 v11, 23, v5
	v_add_u32_e32 v11, 0xffffff88, v11
	v_not_b32_e32 v13, 63
	v_cmp_lt_u32_e32 vcc, 63, v11
	s_mov_b32 s4, 0xfe5163ab
	v_mov_b32_e32 v17, 0
	v_cndmask_b32_e32 v13, 0, v13, vcc
	v_add_u32_e32 v11, v13, v11
	v_not_b32_e32 v13, 31
	v_cmp_lt_u32_e64 s[0:1], 31, v11
	s_nop 1
	v_cndmask_b32_e64 v14, 0, v13, s[0:1]
	v_add_u32_e32 v11, v14, v11
	v_cmp_lt_u32_e64 s[2:3], 31, v11
	s_nop 1
	v_cndmask_b32_e64 v13, 0, v13, s[2:3]
	v_add_u32_e32 v11, v13, v11
	v_and_b32_e32 v13, 0x7fffff, v5
	v_or_b32_e32 v13, 0x800000, v13
	v_mad_u64_u32 v[14:15], s[4:5], v13, s4, 0
	v_mov_b32_e32 v16, v15
	s_mov_b32 s4, 0x3c439041
	v_mad_u64_u32 v[18:19], s[4:5], v13, s4, v[16:17]
	v_mov_b32_e32 v16, v19
	s_mov_b32 s4, 0xdb629599
	;; [unrolled: 3-line block ×6, first 2 shown]
	v_mad_u64_u32 v[16:17], s[4:5], v13, s4, v[16:17]
	v_cndmask_b32_e32 v15, v26, v22, vcc
	v_cndmask_b32_e32 v13, v16, v24, vcc
	;; [unrolled: 1-line block ×3, first 2 shown]
	v_cndmask_b32_e64 v16, v13, v15, s[0:1]
	v_cndmask_b32_e64 v13, v17, v13, s[0:1]
	v_cndmask_b32_e32 v17, v24, v20, vcc
	v_cndmask_b32_e64 v15, v15, v17, s[0:1]
	v_cndmask_b32_e64 v13, v13, v16, s[2:3]
	;; [unrolled: 1-line block ×3, first 2 shown]
	v_sub_u32_e32 v19, 32, v11
	v_alignbit_b32 v21, v13, v16, v19
	v_cmp_eq_u32_e64 s[4:5], 0, v11
	v_cndmask_b32_e32 v14, v20, v14, vcc
	s_nop 0
	v_cndmask_b32_e64 v11, v21, v13, s[4:5]
	v_cndmask_b32_e32 v13, v22, v18, vcc
	v_cndmask_b32_e64 v17, v17, v13, s[0:1]
	v_cndmask_b32_e64 v15, v15, v17, s[2:3]
	v_alignbit_b32 v18, v16, v15, v19
	v_cndmask_b32_e64 v13, v13, v14, s[0:1]
	v_cndmask_b32_e64 v16, v18, v16, s[4:5]
	v_bfe_u32 v22, v11, 29, 1
	v_cndmask_b32_e64 v13, v17, v13, s[2:3]
	v_alignbit_b32 v18, v11, v16, 30
	v_sub_u32_e32 v23, 0, v22
	v_alignbit_b32 v14, v15, v13, v19
	v_xor_b32_e32 v18, v18, v23
	v_cndmask_b32_e64 v14, v14, v15, s[4:5]
	v_alignbit_b32 v15, v16, v14, 30
	v_ffbh_u32_e32 v16, v18
	v_min_u32_e32 v16, 32, v16
	v_alignbit_b32 v13, v14, v13, 30
	v_xor_b32_e32 v15, v15, v23
	v_sub_u32_e32 v17, 31, v16
	v_xor_b32_e32 v13, v13, v23
	v_alignbit_b32 v18, v18, v15, v17
	v_alignbit_b32 v13, v15, v13, v17
	v_alignbit_b32 v14, v18, v13, 9
	v_ffbh_u32_e32 v15, v14
	v_min_u32_e32 v15, 32, v15
	v_lshrrev_b32_e32 v21, 29, v11
	v_not_b32_e32 v17, v15
	v_alignbit_b32 v13, v14, v13, v17
	v_lshlrev_b32_e32 v14, 31, v21
	v_or_b32_e32 v17, 0x33000000, v14
	v_add_lshl_u32 v15, v15, v16, 23
	v_lshrrev_b32_e32 v13, 9, v13
	v_sub_u32_e32 v15, v17, v15
	v_or_b32_e32 v14, 0.5, v14
	v_lshlrev_b32_e32 v16, 23, v16
	v_or_b32_e32 v13, v15, v13
	v_lshrrev_b32_e32 v15, 9, v18
	v_sub_u32_e32 v14, v14, v16
	v_or_b32_e32 v14, v15, v14
	s_mov_b32 s0, 0x3fc90fda
	v_mul_f32_e32 v15, 0x3fc90fda, v14
	v_fma_f32 v16, v14, s0, -v15
	v_fmamk_f32 v14, v14, 0x33a22168, v16
	v_fmac_f32_e32 v14, 0x3fc90fda, v13
	v_lshrrev_b32_e32 v11, 30, v11
	v_add_f32_e32 v13, v15, v14
	v_add_u32_e32 v11, v22, v11
	s_andn2_saveexec_b64 s[0:1], s[14:15]
	s_cbranch_execnz .LBB22_1639
	s_branch .LBB22_1640
.LBB22_1638:
	s_andn2_saveexec_b64 s[0:1], s[14:15]
	s_cbranch_execz .LBB22_1640
.LBB22_1639:
	s_mov_b32 s2, 0x3f22f983
	v_mul_f32_e64 v11, |v3|, s2
	v_rndne_f32_e32 v13, v11
	s_mov_b32 s2, 0xbfc90fda
	v_cvt_i32_f32_e32 v11, v13
	v_fma_f32 v14, v13, s2, |v3|
	v_fmamk_f32 v14, v13, 0xb3a22168, v14
	v_fmamk_f32 v13, v13, 0xa7c234c4, v14
.LBB22_1640:
	s_or_b64 exec, exec, s[0:1]
	s_mov_b32 s2, 0x40a00000
	v_div_scale_f32 v14, s[0:1], v1, v1, s2
	v_rcp_f32_e32 v15, v14
	v_div_scale_f32 v16, vcc, s2, v1, s2
	v_mov_b32_e32 v19, 0x42947983
	v_fma_f32 v17, -v14, v15, 1.0
	v_fmac_f32_e32 v15, v17, v15
	v_mul_f32_e32 v17, v16, v15
	v_fma_f32 v18, -v14, v17, v16
	v_fmac_f32_e32 v17, v18, v15
	v_fma_f32 v14, -v14, v17, v16
	v_div_fmas_f32 v14, v14, v15, v17
	v_div_fixup_f32 v14, v14, v1, s2
	v_mul_f32_e32 v15, v14, v14
	v_mov_b32_e32 v16, 0x3a47c962
	v_mov_b32_e32 v17, 0x3a15c4d9
	v_fmac_f32_e32 v16, 0, v15
	v_fmac_f32_e32 v17, 0, v15
	v_fmaak_f32 v16, v15, v16, 0x3d95ca45
	v_fmaak_f32 v17, v15, v17, 0x3d8cfeeb
	;; [unrolled: 1-line block ×8, first 2 shown]
	v_mov_b32_e32 v18, 0x3d513fd3
	v_fmaak_f32 v16, v15, v16, 0x40a6dd51
	v_fmaak_f32 v17, v15, v17, 0x40a6b6ea
	v_fmac_f32_e32 v18, 0, v15
	v_fma_f32 v17, v15, v17, 1.0
	v_fmaak_f32 v18, v15, v18, 0x409f6dae
	v_fmac_f32_e32 v19, 0, v15
	v_fma_f32 v16, v15, v16, 1.0
	v_fmaak_f32 v18, v15, v18, 0x4297a5cd
	v_fmaak_f32 v19, v15, v19, 0x44840e5d
	v_div_scale_f32 v20, s[0:1], v17, v17, v16
	v_fmaak_f32 v18, v15, v18, 0x43b763ca
	v_fmaak_f32 v19, v15, v19, 0x459bd349
	v_rcp_f32_e32 v21, v20
	v_fmaak_f32 v18, v15, v18, 0x4431b6ce
	v_fmaak_f32 v19, v15, v19, 0x46156947
	;; [unrolled: 1-line block ×8, first 2 shown]
	v_fma_f32 v19, -v20, v21, 1.0
	v_fmac_f32_e32 v21, v19, v21
	v_div_scale_f32 v19, vcc, v16, v17, v16
	v_mul_f32_e32 v22, v19, v21
	v_fma_f32 v23, -v20, v22, v19
	v_fmac_f32_e32 v22, v23, v21
	v_fma_f32 v19, -v20, v22, v19
	v_div_fmas_f32 v19, v19, v21, v22
	v_div_fixup_f32 v16, v19, v17, v16
	v_mul_f32_e32 v17, v9, v9
	v_mov_b32_e32 v19, 0x3c0881c4
	v_fmamk_f32 v20, v17, 0xb94c1982, v19
	v_fmaak_f32 v20, v17, v20, 0xbe2aaa9d
	v_mul_f32_e32 v20, v17, v20
	v_fmac_f32_e32 v9, v9, v20
	v_mov_b32_e32 v20, 0xbab64f3b
	v_fmamk_f32 v22, v17, 0x37d75334, v20
	v_fmaak_f32 v22, v17, v22, 0x3d2aabf7
	v_fmaak_f32 v22, v17, v22, 0xbf000004
	v_fma_f32 v17, v17, v22, 1.0
	v_and_b32_e32 v22, 1, v7
	v_lshlrev_b32_e32 v7, 30, v7
	v_cmp_eq_u32_e32 vcc, 0, v22
	v_and_b32_e32 v7, 0x80000000, v7
	v_xor_b32_e32 v5, v5, v3
	v_cndmask_b32_e32 v9, v17, v9, vcc
	v_xor_b32_e32 v5, v5, v7
	v_div_scale_f32 v7, s[0:1], v15, v15, v18
	v_xor_b32_e32 v5, v5, v9
	v_rcp_f32_e32 v9, v7
	s_movk_i32 s3, 0x1f8
	v_mov_b32_e32 v17, 0x7fc00000
	v_cmp_class_f32_e64 s[0:1], v3, s3
	v_mov_b32_e32 v21, 0xbe2aaa9d
	v_mov_b32_e32 v23, 0x3d2aabf7
	v_cndmask_b32_e64 v3, v17, v5, s[0:1]
	v_fma_f32 v5, -v7, v9, 1.0
	v_fmac_f32_e32 v9, v5, v9
	v_div_scale_f32 v5, vcc, v18, v15, v18
	v_mul_f32_e32 v22, v5, v9
	v_fma_f32 v25, -v7, v22, v5
	v_fmac_f32_e32 v22, v25, v9
	v_fma_f32 v5, -v7, v22, v5
	v_mul_f32_e32 v7, v13, v13
	v_fmac_f32_e32 v19, 0xb94c1982, v7
	v_fmac_f32_e32 v21, v7, v19
	;; [unrolled: 1-line block ×3, first 2 shown]
	v_mov_b32_e32 v24, 0xbf000004
	v_div_fmas_f32 v5, v5, v9, v22
	v_mul_f32_e32 v9, v7, v21
	v_fmac_f32_e32 v23, v7, v20
	v_fmac_f32_e32 v13, v13, v9
	;; [unrolled: 1-line block ×3, first 2 shown]
	v_and_b32_e32 v9, 1, v11
	v_fma_f32 v7, v7, v24, 1.0
	v_cmp_eq_u32_e32 vcc, 0, v9
	s_brev_b32 s2, 1
	v_lshlrev_b32_e32 v9, 30, v11
	v_cndmask_b32_e64 v7, -v13, v7, vcc
	v_bitop3_b32 v7, v9, v7, s2 bitop3:0x6c
	v_cndmask_b32_e64 v7, v17, v7, s[0:1]
	s_mov_b32 s0, 0xf800000
	v_mul_f32_e32 v9, 0x4f800000, v1
	v_cmp_gt_f32_e32 vcc, s0, v1
	v_div_fixup_f32 v5, v5, v15, v18
	v_mul_f32_e32 v5, v14, v5
	v_cndmask_b32_e32 v1, v1, v9, vcc
	v_sqrt_f32_e32 v9, v1
	v_mul_f32_e32 v5, v5, v7
	v_fmac_f32_e32 v5, v16, v3
	v_mul_f32_e32 v3, 0x3f4c422a, v5
	v_add_u32_e32 v5, -1, v9
	v_fma_f32 v7, -v5, v9, v1
	v_cmp_ge_f32_e64 s[0:1], 0, v7
	v_add_u32_e32 v7, 1, v9
	s_nop 0
	v_cndmask_b32_e64 v5, v9, v5, s[0:1]
	v_fma_f32 v9, -v7, v9, v1
	v_cmp_lt_f32_e64 s[0:1], 0, v9
	s_nop 1
	v_cndmask_b32_e64 v5, v5, v7, s[0:1]
	v_mul_f32_e32 v7, 0x37800000, v5
	v_cndmask_b32_e32 v5, v5, v7, vcc
	v_mov_b32_e32 v7, 0x260
	v_cmp_class_f32_e32 vcc, v1, v7
	s_nop 1
	v_cndmask_b32_e32 v1, v5, v1, vcc
	v_div_scale_f32 v5, s[0:1], v1, v1, v3
	v_rcp_f32_e32 v7, v5
	s_nop 0
	v_fma_f32 v9, -v5, v7, 1.0
	v_fmac_f32_e32 v7, v9, v7
	v_div_scale_f32 v9, vcc, v3, v1, v3
	v_mul_f32_e32 v11, v9, v7
	v_fma_f32 v13, -v5, v11, v9
	v_fmac_f32_e32 v11, v13, v7
	v_fma_f32 v5, -v5, v11, v9
	v_div_fmas_f32 v5, v5, v7, v11
	v_div_fixup_f32 v14, v5, v1, v3
.LBB22_1641:
	s_or_b64 exec, exec, s[12:13]
	v_mov_b32_e32 v13, 0
	s_cmp_lt_i32 s19, 11
	v_lshl_add_u64 v[12:13], s[10:11], 0, v[12:13]
	s_cbranch_scc1 .LBB22_1648
; %bb.1642:
	s_and_b32 s14, 0xffff, s19
	s_cmp_gt_i32 s14, 25
	s_mov_b64 s[2:3], 0
	s_cbranch_scc0 .LBB22_1649
; %bb.1643:
	s_cmp_gt_i32 s14, 28
	s_cbranch_scc0 .LBB22_1650
; %bb.1644:
	s_cmp_gt_i32 s14, 43
	;; [unrolled: 3-line block ×3, first 2 shown]
	s_cbranch_scc0 .LBB22_1653
; %bb.1646:
	s_cmp_eq_u32 s14, 46
	s_mov_b64 s[10:11], 0
	s_cbranch_scc0 .LBB22_1654
; %bb.1647:
	global_load_dword v1, v[12:13], off
	s_mov_b64 s[0:1], 0
	s_mov_b64 s[4:5], -1
	s_waitcnt vmcnt(0)
	v_lshlrev_b32_e32 v1, 16, v1
	s_branch .LBB22_1655
.LBB22_1648:
	s_mov_b64 s[0:1], -1
	s_mov_b64 s[4:5], 0
                                        ; implicit-def: $vgpr1
	s_branch .LBB22_1721
.LBB22_1649:
	s_mov_b64 s[10:11], -1
	s_mov_b64 s[4:5], 0
	s_mov_b64 s[0:1], 0
                                        ; implicit-def: $vgpr1
	s_branch .LBB22_1684
.LBB22_1650:
	s_mov_b64 s[10:11], -1
	s_mov_b64 s[4:5], 0
	s_mov_b64 s[0:1], 0
                                        ; implicit-def: $vgpr1
	s_branch .LBB22_1665
.LBB22_1651:
	s_mov_b64 s[10:11], -1
	s_mov_b64 s[4:5], 0
	s_mov_b64 s[0:1], 0
                                        ; implicit-def: $vgpr1
	s_branch .LBB22_1660
.LBB22_1652:
	s_trap 2
	s_or_b64 s[6:7], s[6:7], exec
	s_cbranch_execz .LBB22_1575
	s_branch .LBB22_1576
.LBB22_1653:
	s_mov_b64 s[10:11], -1
	s_mov_b64 s[4:5], 0
	s_mov_b64 s[0:1], 0
                                        ; implicit-def: $vgpr1
	s_branch .LBB22_1655
.LBB22_1654:
	s_mov_b64 s[0:1], -1
                                        ; implicit-def: $vgpr1
	s_mov_b64 s[4:5], 0
.LBB22_1655:
	s_and_b64 vcc, exec, s[10:11]
	s_cbranch_vccz .LBB22_1659
; %bb.1656:
	s_cmp_eq_u32 s14, 44
	s_cbranch_scc0 .LBB22_1658
; %bb.1657:
	global_load_ubyte v1, v[12:13], off
	s_movk_i32 s4, 0xff
	v_mov_b32_e32 v3, 0x7f800001
	v_mov_b32_e32 v5, 0x400000
	s_mov_b64 s[0:1], 0
	s_waitcnt vmcnt(0)
	v_lshlrev_b32_e32 v7, 23, v1
	v_cmp_ne_u32_e32 vcc, s4, v1
	s_mov_b64 s[4:5], -1
	s_nop 0
	v_cndmask_b32_e32 v3, v3, v7, vcc
	v_cmp_ne_u32_e32 vcc, 0, v1
	s_nop 1
	v_cndmask_b32_e32 v1, v5, v3, vcc
	s_branch .LBB22_1659
.LBB22_1658:
	s_mov_b64 s[0:1], -1
                                        ; implicit-def: $vgpr1
.LBB22_1659:
	s_mov_b64 s[10:11], 0
.LBB22_1660:
	s_and_b64 vcc, exec, s[10:11]
	s_cbranch_vccz .LBB22_1664
; %bb.1661:
	s_cmp_eq_u32 s14, 29
	s_cbranch_scc0 .LBB22_1663
; %bb.1662:
	global_load_dwordx2 v[16:17], v[12:13], off
	s_mov_b64 s[0:1], 0
	s_mov_b64 s[4:5], -1
	s_mov_b64 s[10:11], 0
	s_waitcnt vmcnt(0)
	v_ffbh_u32_e32 v1, v17
	v_min_u32_e32 v1, 32, v1
	v_lshlrev_b64 v[16:17], v1, v[16:17]
	v_min_u32_e32 v3, 1, v16
	v_or_b32_e32 v3, v17, v3
	v_cvt_f32_u32_e32 v3, v3
	v_sub_u32_e32 v1, 32, v1
	v_ldexp_f32 v1, v3, v1
	s_branch .LBB22_1665
.LBB22_1663:
	s_mov_b64 s[0:1], -1
                                        ; implicit-def: $vgpr1
.LBB22_1664:
	s_mov_b64 s[10:11], 0
.LBB22_1665:
	s_and_b64 vcc, exec, s[10:11]
	s_cbranch_vccz .LBB22_1683
; %bb.1666:
	s_cmp_lt_i32 s14, 27
	s_cbranch_scc1 .LBB22_1669
; %bb.1667:
	s_cmp_gt_i32 s14, 27
	s_cbranch_scc0 .LBB22_1670
; %bb.1668:
	global_load_dword v1, v[12:13], off
	s_mov_b64 s[4:5], 0
	s_waitcnt vmcnt(0)
	v_cvt_f32_u32_e32 v1, v1
	s_branch .LBB22_1671
.LBB22_1669:
	s_mov_b64 s[4:5], -1
                                        ; implicit-def: $vgpr1
	s_branch .LBB22_1674
.LBB22_1670:
	s_mov_b64 s[4:5], -1
                                        ; implicit-def: $vgpr1
.LBB22_1671:
	s_andn2_b64 vcc, exec, s[4:5]
	s_cbranch_vccnz .LBB22_1673
; %bb.1672:
	global_load_ushort v1, v[12:13], off
	s_waitcnt vmcnt(0)
	v_cvt_f32_u32_e32 v1, v1
.LBB22_1673:
	s_mov_b64 s[4:5], 0
.LBB22_1674:
	s_andn2_b64 vcc, exec, s[4:5]
	s_cbranch_vccnz .LBB22_1682
; %bb.1675:
	global_load_ubyte v3, v[12:13], off
	s_movk_i32 s4, 0x7f
	s_waitcnt vmcnt(0)
	v_cmp_lt_i16_e32 vcc, s4, v3
	s_mov_b64 s[4:5], 0
	s_and_saveexec_b64 s[10:11], vcc
	s_xor_b64 s[10:11], exec, s[10:11]
	s_cbranch_execz .LBB22_1696
; %bb.1676:
	s_movk_i32 s4, 0x80
	v_cmp_eq_u16_e32 vcc, s4, v3
	s_mov_b64 s[4:5], -1
	s_and_saveexec_b64 s[12:13], vcc
; %bb.1677:
	s_xor_b64 s[4:5], exec, -1
; %bb.1678:
	s_or_b64 exec, exec, s[12:13]
	s_and_b64 s[4:5], s[4:5], exec
	s_or_saveexec_b64 s[10:11], s[10:11]
	v_mov_b32_e32 v1, 0x7f800001
	s_xor_b64 exec, exec, s[10:11]
	s_cbranch_execnz .LBB22_1697
.LBB22_1679:
	s_or_b64 exec, exec, s[10:11]
	s_and_saveexec_b64 s[10:11], s[4:5]
	s_cbranch_execz .LBB22_1681
.LBB22_1680:
	v_lshlrev_b32_e32 v1, 24, v3
	v_and_b32_e32 v3, 0xffff, v3
	v_and_b32_e32 v5, 7, v3
	v_ffbh_u32_e32 v9, v5
	v_min_u32_e32 v9, 32, v9
	v_subrev_u32_e32 v11, 28, v9
	v_bfe_u32 v7, v3, 3, 4
	v_lshlrev_b32_e32 v3, v11, v3
	v_sub_u32_e32 v9, 29, v9
	v_and_b32_e32 v3, 7, v3
	v_cmp_eq_u32_e32 vcc, 0, v7
	v_and_b32_e32 v1, 0x80000000, v1
	s_nop 0
	v_cndmask_b32_e32 v7, v7, v9, vcc
	v_cndmask_b32_e32 v3, v5, v3, vcc
	v_mov_b32_e32 v5, 0x3b800000
	v_lshlrev_b32_e32 v3, 20, v3
	v_lshl_add_u32 v5, v7, 23, v5
	v_or3_b32 v1, v1, v5, v3
.LBB22_1681:
	s_or_b64 exec, exec, s[10:11]
.LBB22_1682:
	s_mov_b64 s[4:5], -1
.LBB22_1683:
	s_mov_b64 s[10:11], 0
.LBB22_1684:
	s_and_b64 vcc, exec, s[10:11]
	s_cbranch_vccz .LBB22_1717
; %bb.1685:
	s_cmp_gt_i32 s14, 22
	s_cbranch_scc0 .LBB22_1695
; %bb.1686:
	s_cmp_lt_i32 s14, 24
	s_cbranch_scc1 .LBB22_1698
; %bb.1687:
	s_cmp_gt_i32 s14, 24
	s_cbranch_scc0 .LBB22_1699
; %bb.1688:
	global_load_ubyte v3, v[12:13], off
	s_movk_i32 s2, 0x7f
	s_waitcnt vmcnt(0)
	v_cmp_lt_i16_e32 vcc, s2, v3
	s_mov_b64 s[2:3], 0
	s_and_saveexec_b64 s[4:5], vcc
	s_xor_b64 s[4:5], exec, s[4:5]
	s_cbranch_execz .LBB22_1711
; %bb.1689:
	s_movk_i32 s2, 0x80
	v_cmp_eq_u16_e32 vcc, s2, v3
	s_mov_b64 s[2:3], -1
	s_and_saveexec_b64 s[10:11], vcc
; %bb.1690:
	s_xor_b64 s[2:3], exec, -1
; %bb.1691:
	s_or_b64 exec, exec, s[10:11]
	s_and_b64 s[2:3], s[2:3], exec
	s_or_saveexec_b64 s[4:5], s[4:5]
	v_mov_b32_e32 v1, 0x7f800001
	s_xor_b64 exec, exec, s[4:5]
	s_cbranch_execnz .LBB22_1712
.LBB22_1692:
	s_or_b64 exec, exec, s[4:5]
	s_and_saveexec_b64 s[4:5], s[2:3]
	s_cbranch_execz .LBB22_1694
.LBB22_1693:
	v_lshlrev_b32_e32 v1, 24, v3
	v_and_b32_e32 v3, 0xffff, v3
	v_and_b32_e32 v5, 3, v3
	v_ffbh_u32_e32 v9, v5
	v_min_u32_e32 v9, 32, v9
	v_subrev_u32_e32 v11, 29, v9
	v_bfe_u32 v7, v3, 2, 5
	v_lshlrev_b32_e32 v3, v11, v3
	v_sub_u32_e32 v9, 30, v9
	v_and_b32_e32 v3, 3, v3
	v_cmp_eq_u32_e32 vcc, 0, v7
	v_and_b32_e32 v1, 0x80000000, v1
	s_nop 0
	v_cndmask_b32_e32 v7, v7, v9, vcc
	v_cndmask_b32_e32 v3, v5, v3, vcc
	v_mov_b32_e32 v5, 0x37800000
	v_lshlrev_b32_e32 v3, 21, v3
	v_lshl_add_u32 v5, v7, 23, v5
	v_or3_b32 v1, v1, v5, v3
.LBB22_1694:
	s_or_b64 exec, exec, s[4:5]
	s_mov_b64 s[2:3], 0
	s_branch .LBB22_1700
.LBB22_1695:
	s_mov_b64 s[2:3], -1
                                        ; implicit-def: $vgpr1
	s_branch .LBB22_1706
.LBB22_1696:
	s_or_saveexec_b64 s[10:11], s[10:11]
	v_mov_b32_e32 v1, 0x7f800001
	s_xor_b64 exec, exec, s[10:11]
	s_cbranch_execz .LBB22_1679
.LBB22_1697:
	v_cmp_ne_u16_e32 vcc, 0, v3
	s_andn2_b64 s[4:5], s[4:5], exec
	s_and_b64 s[12:13], vcc, exec
	v_mov_b32_e32 v1, 0
	s_or_b64 s[4:5], s[4:5], s[12:13]
	s_or_b64 exec, exec, s[10:11]
	s_and_saveexec_b64 s[10:11], s[4:5]
	s_cbranch_execnz .LBB22_1680
	s_branch .LBB22_1681
.LBB22_1698:
	s_mov_b64 s[2:3], -1
                                        ; implicit-def: $vgpr1
	s_branch .LBB22_1703
.LBB22_1699:
	s_mov_b64 s[2:3], -1
                                        ; implicit-def: $vgpr1
.LBB22_1700:
	s_and_b64 vcc, exec, s[2:3]
	s_cbranch_vccz .LBB22_1702
; %bb.1701:
	global_load_ubyte v1, v[12:13], off
	s_mov_b32 s2, 0x7f800000
	s_waitcnt vmcnt(0)
	v_lshlrev_b32_e32 v1, 24, v1
	v_and_b32_e32 v3, 0x7f000000, v1
	v_ffbh_u32_e32 v5, v3
	v_min_u32_e32 v5, 32, v5
	v_sub_u32_e64 v5, v5, 4 clamp
	v_lshlrev_b32_e32 v9, v5, v3
	v_lshlrev_b32_e32 v5, 23, v5
	v_lshrrev_b32_e32 v9, 4, v9
	v_add_u32_e32 v7, 0x1000000, v3
	v_sub_u32_e32 v5, v9, v5
	v_ashrrev_i32_e32 v7, 8, v7
	v_add_u32_e32 v5, 0x3c000000, v5
	v_and_or_b32 v5, v7, s2, v5
	v_cmp_ne_u32_e32 vcc, 0, v3
	s_brev_b32 s2, 1
	s_nop 0
	v_cndmask_b32_e32 v3, 0, v5, vcc
	v_and_or_b32 v1, v1, s2, v3
.LBB22_1702:
	s_mov_b64 s[2:3], 0
.LBB22_1703:
	s_andn2_b64 vcc, exec, s[2:3]
	s_cbranch_vccnz .LBB22_1705
; %bb.1704:
	global_load_ubyte v1, v[12:13], off
	s_movk_i32 s2, 0x7f00
	s_brev_b32 s3, 16
	s_waitcnt vmcnt(0)
	v_lshlrev_b16_e32 v3, 8, v1
	v_lshlrev_b32_e32 v1, 25, v1
	v_lshrrev_b32_e32 v5, 4, v1
	v_and_or_b32 v7, v3, s2, 0.5
	v_or_b32_e32 v5, 0x70000000, v5
	v_add_f32_e32 v7, -0.5, v7
	v_mul_f32_e32 v5, 0x7800000, v5
	v_cmp_gt_u32_e32 vcc, s3, v1
	v_bfe_i32 v3, v3, 0, 16
	s_brev_b32 s2, 1
	v_cndmask_b32_e32 v1, v5, v7, vcc
	v_and_or_b32 v1, v3, s2, v1
.LBB22_1705:
	s_mov_b64 s[2:3], 0
	s_mov_b64 s[4:5], -1
.LBB22_1706:
	s_andn2_b64 vcc, exec, s[2:3]
	s_mov_b64 s[2:3], 0
	s_cbranch_vccnz .LBB22_1717
; %bb.1707:
	s_cmp_gt_i32 s14, 14
	s_cbranch_scc0 .LBB22_1710
; %bb.1708:
	s_cmp_eq_u32 s14, 15
	s_cbranch_scc0 .LBB22_1713
; %bb.1709:
	global_load_ushort v1, v[12:13], off
	s_mov_b64 s[0:1], 0
	s_mov_b64 s[4:5], -1
	s_waitcnt vmcnt(0)
	v_lshlrev_b32_e32 v1, 16, v1
	s_branch .LBB22_1714
.LBB22_1710:
	s_mov_b64 s[10:11], -1
                                        ; implicit-def: $vgpr1
	s_branch .LBB22_1715
.LBB22_1711:
	s_or_saveexec_b64 s[4:5], s[4:5]
	v_mov_b32_e32 v1, 0x7f800001
	s_xor_b64 exec, exec, s[4:5]
	s_cbranch_execz .LBB22_1692
.LBB22_1712:
	v_cmp_ne_u16_e32 vcc, 0, v3
	s_andn2_b64 s[2:3], s[2:3], exec
	s_and_b64 s[10:11], vcc, exec
	v_mov_b32_e32 v1, 0
	s_or_b64 s[2:3], s[2:3], s[10:11]
	s_or_b64 exec, exec, s[4:5]
	s_and_saveexec_b64 s[4:5], s[2:3]
	s_cbranch_execnz .LBB22_1693
	s_branch .LBB22_1694
.LBB22_1713:
	s_mov_b64 s[0:1], -1
                                        ; implicit-def: $vgpr1
.LBB22_1714:
	s_mov_b64 s[10:11], 0
.LBB22_1715:
	s_and_b64 vcc, exec, s[10:11]
	s_cbranch_vccz .LBB22_1717
; %bb.1716:
	s_cmp_lg_u32 s14, 11
	s_mov_b64 s[2:3], -1
	s_cselect_b64 s[0:1], -1, 0
.LBB22_1717:
	s_and_b64 vcc, exec, s[0:1]
	s_cbranch_vccnz .LBB22_2268
; %bb.1718:
	s_andn2_b64 vcc, exec, s[2:3]
	s_cbranch_vccnz .LBB22_1720
.LBB22_1719:
	global_load_ubyte v1, v[12:13], off
	s_mov_b64 s[4:5], -1
	s_waitcnt vmcnt(0)
	v_cmp_ne_u16_e32 vcc, 0, v1
	s_nop 1
	v_cndmask_b32_e64 v1, 0, 1.0, vcc
.LBB22_1720:
	s_mov_b64 s[0:1], 0
.LBB22_1721:
	s_and_b64 vcc, exec, s[0:1]
	s_cbranch_vccz .LBB22_1770
; %bb.1722:
	s_and_b32 s2, 0xffff, s19
	s_cmp_lt_i32 s2, 5
	s_cbranch_scc1 .LBB22_1727
; %bb.1723:
	s_cmp_lt_i32 s2, 8
	s_cbranch_scc1 .LBB22_1728
; %bb.1724:
	;; [unrolled: 3-line block ×3, first 2 shown]
	s_cmp_gt_i32 s2, 9
	s_cbranch_scc0 .LBB22_1730
; %bb.1726:
	global_load_dwordx2 v[16:17], v[12:13], off
	s_mov_b64 s[0:1], 0
	s_waitcnt vmcnt(0)
	v_cvt_f32_f64_e32 v1, v[16:17]
	s_branch .LBB22_1731
.LBB22_1727:
	s_mov_b64 s[0:1], -1
                                        ; implicit-def: $vgpr1
	s_branch .LBB22_1749
.LBB22_1728:
	s_mov_b64 s[0:1], -1
                                        ; implicit-def: $vgpr1
	s_branch .LBB22_1737
.LBB22_1729:
	s_mov_b64 s[0:1], -1
                                        ; implicit-def: $vgpr1
	s_branch .LBB22_1734
.LBB22_1730:
	s_mov_b64 s[0:1], -1
                                        ; implicit-def: $vgpr1
.LBB22_1731:
	s_andn2_b64 vcc, exec, s[0:1]
	s_cbranch_vccnz .LBB22_1733
; %bb.1732:
	global_load_dword v1, v[12:13], off
.LBB22_1733:
	s_mov_b64 s[0:1], 0
.LBB22_1734:
	s_andn2_b64 vcc, exec, s[0:1]
	s_cbranch_vccnz .LBB22_1736
; %bb.1735:
	global_load_dword v1, v[12:13], off
	s_waitcnt vmcnt(0)
	v_cvt_f32_f16_e32 v1, v1
.LBB22_1736:
	s_mov_b64 s[0:1], 0
.LBB22_1737:
	s_andn2_b64 vcc, exec, s[0:1]
	s_cbranch_vccnz .LBB22_1748
; %bb.1738:
	s_cmp_lt_i32 s2, 6
	s_cbranch_scc1 .LBB22_1741
; %bb.1739:
	s_cmp_gt_i32 s2, 6
	s_cbranch_scc0 .LBB22_1742
; %bb.1740:
	global_load_dwordx2 v[16:17], v[12:13], off
	s_mov_b64 s[0:1], 0
	s_waitcnt vmcnt(0)
	v_cvt_f32_f64_e32 v1, v[16:17]
	s_branch .LBB22_1743
.LBB22_1741:
	s_mov_b64 s[0:1], -1
                                        ; implicit-def: $vgpr1
	s_branch .LBB22_1746
.LBB22_1742:
	s_mov_b64 s[0:1], -1
                                        ; implicit-def: $vgpr1
.LBB22_1743:
	s_andn2_b64 vcc, exec, s[0:1]
	s_cbranch_vccnz .LBB22_1745
; %bb.1744:
	global_load_dword v1, v[12:13], off
.LBB22_1745:
	s_mov_b64 s[0:1], 0
.LBB22_1746:
	s_andn2_b64 vcc, exec, s[0:1]
	s_cbranch_vccnz .LBB22_1748
; %bb.1747:
	global_load_ushort v1, v[12:13], off
	s_waitcnt vmcnt(0)
	v_cvt_f32_f16_e32 v1, v1
.LBB22_1748:
	s_mov_b64 s[0:1], 0
.LBB22_1749:
	s_andn2_b64 vcc, exec, s[0:1]
	s_cbranch_vccnz .LBB22_1769
; %bb.1750:
	s_cmp_lt_i32 s2, 2
	s_cbranch_scc1 .LBB22_1754
; %bb.1751:
	s_cmp_lt_i32 s2, 3
	s_cbranch_scc1 .LBB22_1755
; %bb.1752:
	s_cmp_gt_i32 s2, 3
	s_cbranch_scc0 .LBB22_1756
; %bb.1753:
	global_load_dwordx2 v[16:17], v[12:13], off
	s_mov_b64 s[0:1], 0
	s_waitcnt vmcnt(0)
	v_xor_b32_e32 v3, v16, v17
	v_ffbh_i32_e32 v1, v17
	v_ashrrev_i32_e32 v3, 31, v3
	v_add_u32_e32 v1, -1, v1
	v_add_u32_e32 v3, 32, v3
	v_min_u32_e32 v1, v1, v3
	v_lshlrev_b64 v[16:17], v1, v[16:17]
	v_min_u32_e32 v3, 1, v16
	v_or_b32_e32 v3, v17, v3
	v_cvt_f32_i32_e32 v3, v3
	v_sub_u32_e32 v1, 32, v1
	v_ldexp_f32 v1, v3, v1
	s_branch .LBB22_1757
.LBB22_1754:
	s_mov_b64 s[0:1], -1
                                        ; implicit-def: $vgpr1
	s_branch .LBB22_1763
.LBB22_1755:
	s_mov_b64 s[0:1], -1
                                        ; implicit-def: $vgpr1
	s_branch .LBB22_1760
.LBB22_1756:
	s_mov_b64 s[0:1], -1
                                        ; implicit-def: $vgpr1
.LBB22_1757:
	s_andn2_b64 vcc, exec, s[0:1]
	s_cbranch_vccnz .LBB22_1759
; %bb.1758:
	global_load_dword v1, v[12:13], off
	s_waitcnt vmcnt(0)
	v_cvt_f32_i32_e32 v1, v1
.LBB22_1759:
	s_mov_b64 s[0:1], 0
.LBB22_1760:
	s_andn2_b64 vcc, exec, s[0:1]
	s_cbranch_vccnz .LBB22_1762
; %bb.1761:
	global_load_sshort v1, v[12:13], off
	s_waitcnt vmcnt(0)
	v_cvt_f32_i32_e32 v1, v1
.LBB22_1762:
	s_mov_b64 s[0:1], 0
.LBB22_1763:
	s_andn2_b64 vcc, exec, s[0:1]
	s_cbranch_vccnz .LBB22_1769
; %bb.1764:
	s_cmp_gt_i32 s2, 0
	s_cbranch_scc0 .LBB22_1766
; %bb.1765:
	global_load_sbyte v1, v[12:13], off
	s_mov_b64 s[0:1], 0
	s_waitcnt vmcnt(0)
	v_cvt_f32_i32_e32 v1, v1
	s_branch .LBB22_1767
.LBB22_1766:
	s_mov_b64 s[0:1], -1
                                        ; implicit-def: $vgpr1
.LBB22_1767:
	s_andn2_b64 vcc, exec, s[0:1]
	s_cbranch_vccnz .LBB22_1769
; %bb.1768:
	global_load_ubyte v1, v[12:13], off
	s_waitcnt vmcnt(0)
	v_cvt_f32_ubyte0_e32 v1, v1
.LBB22_1769:
	s_mov_b64 s[4:5], -1
.LBB22_1770:
	s_andn2_b64 vcc, exec, s[4:5]
	s_cbranch_vccnz .LBB22_1780
; %bb.1771:
	s_mov_b32 s0, 0x40a00000
	s_waitcnt vmcnt(0)
	v_cmp_ge_f32_e32 vcc, s0, v1
                                        ; implicit-def: $vgpr12
	s_and_saveexec_b64 s[0:1], vcc
	s_xor_b64 s[2:3], exec, s[0:1]
	s_cbranch_execz .LBB22_1777
; %bb.1772:
	v_cmp_neq_f32_e32 vcc, 0, v1
	v_mov_b32_e32 v12, 0xff800000
	s_and_saveexec_b64 s[4:5], vcc
	s_cbranch_execz .LBB22_1776
; %bb.1773:
	v_cmp_nge_f32_e32 vcc, 0, v1
	v_mov_b32_e32 v12, 0x7fc00000
	s_and_saveexec_b64 s[10:11], vcc
	s_cbranch_execz .LBB22_1775
; %bb.1774:
	v_mul_f32_e32 v12, v1, v1
	v_mov_b32_e32 v3, 0x4414934d
	v_fmac_f32_e32 v3, 0, v12
	v_fmaak_f32 v3, v12, v3, 0x48660b06
	s_mov_b32 s0, 0x4e9695f3
	v_mul_f32_e32 v16, 0, v12
	v_mul_f32_e32 v17, v12, v3
	s_mov_b32 s1, 0x4c8c277d
	v_pk_add_f32 v[18:19], v[16:17], s[0:1]
	s_mov_b32 s0, 0xd316b96b
	s_mov_b32 s1, 0x508bc61d
	v_pk_fma_f32 v[18:19], v[12:13], v[18:19], s[0:1] op_sel_hi:[0,1,1]
	s_mov_b32 s0, 0x56d04aa6
	s_mov_b32 s1, 0x5461faf8
	v_pk_fma_f32 v[18:19], v[12:13], v[18:19], s[0:1] op_sel_hi:[0,1,1]
	;; [unrolled: 3-line block ×5, first 2 shown]
	v_div_scale_f32 v3, s[0:1], v19, v19, v18
	v_rcp_f32_e32 v5, v3
	s_mov_b32 s0, 0xce5691e2
	s_mov_b32 s1, 0x548a37dc
	v_fma_f32 v7, -v3, v5, 1.0
	v_fmac_f32_e32 v5, v7, v5
	v_div_scale_f32 v7, vcc, v18, v19, v18
	v_mul_f32_e32 v9, v7, v5
	v_fma_f32 v11, -v3, v9, v7
	v_fmac_f32_e32 v9, v11, v5
	v_fma_f32 v3, -v3, v9, v7
	v_mov_b32_e32 v7, 0x441b3589
	v_fmac_f32_e32 v7, 0, v12
	v_fmaak_f32 v7, v12, v7, 0x487af6d0
	v_fmaak_f32 v7, v12, v7, 0x4c9f4aa7
	;; [unrolled: 1-line block ×3, first 2 shown]
	v_mul_f32_e32 v17, v12, v7
	v_pk_add_f32 v[16:17], v[16:17], s[0:1]
	s_mov_b32 s0, 0x52d295d0
	s_mov_b32 s1, 0x58325852
	v_pk_fma_f32 v[16:17], v[12:13], v[16:17], s[0:1] op_sel_hi:[0,1,1]
	s_mov_b32 s0, 0xd6845497
	s_mov_b32 s1, 0x5b9f0600
	v_pk_fma_f32 v[16:17], v[12:13], v[16:17], s[0:1] op_sel_hi:[0,1,1]
	;; [unrolled: 3-line block ×3, first 2 shown]
	v_div_scale_f32 v7, s[0:1], v17, v17, v16
	v_rcp_f32_e32 v11, v7
	v_div_fmas_f32 v3, v3, v5, v9
	s_mov_b32 s0, 0xc244dfb3
	s_mov_b32 s1, 0xc16ae95a
	v_fma_f32 v5, -v7, v11, 1.0
	v_fmac_f32_e32 v11, v5, v11
	v_div_scale_f32 v5, vcc, v16, v17, v16
	v_mul_f32_e32 v9, v5, v11
	v_fma_f32 v13, -v7, v9, v5
	v_fmac_f32_e32 v9, v13, v11
	v_fma_f32 v5, -v7, v9, v5
	v_pk_add_f32 v[12:13], v[12:13], s[0:1] op_sel_hi:[0,1]
	s_mov_b32 s0, 0x800000
	v_div_fmas_f32 v5, v5, v11, v9
	v_cmp_gt_f32_e32 vcc, s0, v1
	s_mov_b32 s0, 0x3f317217
	v_div_fixup_f32 v5, v5, v17, v16
	v_cndmask_b32_e64 v7, 0, 32, vcc
	v_ldexp_f32 v7, v1, v7
	v_log_f32_e32 v7, v7
	v_mul_f32_e32 v5, v1, v5
	v_mul_f32_e32 v5, v13, v5
	;; [unrolled: 1-line block ×4, first 2 shown]
	v_fma_f32 v9, v7, s0, -v9
	v_fmamk_f32 v9, v7, 0x3377d1cf, v9
	s_mov_b32 s0, 0x7f800000
	v_fmac_f32_e32 v9, 0x3f317217, v7
	v_cmp_lt_f32_e64 s[0:1], |v7|, s0
	v_mov_b32_e32 v12, 0x41b17218
	v_cndmask_b32_e32 v12, 0, v12, vcc
	v_cndmask_b32_e64 v7, v7, v9, s[0:1]
	v_div_scale_f32 v9, s[0:1], v1, v1, -1.0
	v_rcp_f32_e32 v11, v9
	v_sub_f32_e32 v7, v7, v12
	v_div_fixup_f32 v3, v3, v19, v18
	v_fma_f32 v12, -v9, v11, 1.0
	v_fmac_f32_e32 v11, v12, v11
	v_div_scale_f32 v12, vcc, -1.0, v1, -1.0
	v_mul_f32_e32 v13, v12, v11
	v_fma_f32 v15, -v9, v13, v12
	v_fmac_f32_e32 v13, v15, v11
	v_fma_f32 v9, -v9, v13, v12
	v_div_fmas_f32 v9, v9, v11, v13
	v_div_fixup_f32 v9, v9, v1, -1.0
	v_fmac_f32_e32 v9, v7, v5
	v_mul_f32_e32 v12, 0x3f22f983, v9
	v_fmac_f32_e32 v12, v1, v3
.LBB22_1775:
	s_or_b64 exec, exec, s[10:11]
.LBB22_1776:
	s_or_b64 exec, exec, s[4:5]
                                        ; implicit-def: $vgpr1
.LBB22_1777:
	s_andn2_saveexec_b64 s[10:11], s[2:3]
	s_cbranch_execz .LBB22_1833
; %bb.1778:
	v_add_f32_e32 v3, 0xc016cbe4, v1
	s_brev_b32 s0, 18
	v_and_b32_e32 v5, 0x7fffffff, v3
	v_cmp_nlt_f32_e64 s[12:13], |v3|, s0
                                        ; implicit-def: $vgpr7
                                        ; implicit-def: $vgpr9
	s_and_saveexec_b64 s[0:1], s[12:13]
	s_xor_b64 s[14:15], exec, s[0:1]
	s_cbranch_execz .LBB22_1826
; %bb.1779:
	v_lshrrev_b32_e32 v7, 23, v5
	v_add_u32_e32 v7, 0xffffff88, v7
	v_not_b32_e32 v9, 63
	v_cmp_lt_u32_e32 vcc, 63, v7
	s_mov_b32 s4, 0xfe5163ab
	v_mov_b32_e32 v17, 0
	v_cndmask_b32_e32 v9, 0, v9, vcc
	v_add_u32_e32 v7, v9, v7
	v_not_b32_e32 v9, 31
	v_cmp_lt_u32_e64 s[0:1], 31, v7
	s_nop 1
	v_cndmask_b32_e64 v11, 0, v9, s[0:1]
	v_add_u32_e32 v7, v11, v7
	v_cmp_lt_u32_e64 s[2:3], 31, v7
	s_nop 1
	v_cndmask_b32_e64 v9, 0, v9, s[2:3]
	v_add_u32_e32 v7, v9, v7
	v_and_b32_e32 v9, 0x7fffff, v5
	v_or_b32_e32 v9, 0x800000, v9
	v_mad_u64_u32 v[12:13], s[4:5], v9, s4, 0
	v_mov_b32_e32 v16, v13
	s_mov_b32 s4, 0x3c439041
	v_mad_u64_u32 v[18:19], s[4:5], v9, s4, v[16:17]
	v_mov_b32_e32 v16, v19
	s_mov_b32 s4, 0xdb629599
	;; [unrolled: 3-line block ×6, first 2 shown]
	v_mad_u64_u32 v[16:17], s[4:5], v9, s4, v[16:17]
	v_cndmask_b32_e32 v11, v26, v22, vcc
	v_cndmask_b32_e32 v9, v16, v24, vcc
	;; [unrolled: 1-line block ×3, first 2 shown]
	v_cndmask_b32_e64 v13, v9, v11, s[0:1]
	v_cndmask_b32_e64 v9, v15, v9, s[0:1]
	v_cndmask_b32_e32 v15, v24, v20, vcc
	v_cndmask_b32_e64 v11, v11, v15, s[0:1]
	v_cndmask_b32_e64 v9, v9, v13, s[2:3]
	;; [unrolled: 1-line block ×3, first 2 shown]
	v_sub_u32_e32 v16, 32, v7
	v_alignbit_b32 v17, v9, v13, v16
	v_cmp_eq_u32_e64 s[4:5], 0, v7
	v_cndmask_b32_e32 v12, v20, v12, vcc
	s_nop 0
	v_cndmask_b32_e64 v7, v17, v9, s[4:5]
	v_cndmask_b32_e32 v9, v22, v18, vcc
	v_cndmask_b32_e64 v15, v15, v9, s[0:1]
	v_cndmask_b32_e64 v11, v11, v15, s[2:3]
	v_alignbit_b32 v17, v13, v11, v16
	v_cndmask_b32_e64 v9, v9, v12, s[0:1]
	v_cndmask_b32_e64 v13, v17, v13, s[4:5]
	v_bfe_u32 v19, v7, 29, 1
	v_cndmask_b32_e64 v9, v15, v9, s[2:3]
	v_alignbit_b32 v17, v7, v13, 30
	v_sub_u32_e32 v21, 0, v19
	v_alignbit_b32 v12, v11, v9, v16
	v_xor_b32_e32 v17, v17, v21
	v_cndmask_b32_e64 v11, v12, v11, s[4:5]
	v_alignbit_b32 v12, v13, v11, 30
	v_ffbh_u32_e32 v13, v17
	v_min_u32_e32 v13, 32, v13
	v_alignbit_b32 v9, v11, v9, 30
	v_xor_b32_e32 v12, v12, v21
	v_sub_u32_e32 v15, 31, v13
	v_xor_b32_e32 v9, v9, v21
	v_alignbit_b32 v16, v17, v12, v15
	v_alignbit_b32 v9, v12, v9, v15
	;; [unrolled: 1-line block ×3, first 2 shown]
	v_ffbh_u32_e32 v12, v11
	v_min_u32_e32 v12, 32, v12
	v_lshrrev_b32_e32 v18, 29, v7
	v_not_b32_e32 v15, v12
	v_alignbit_b32 v9, v11, v9, v15
	v_lshlrev_b32_e32 v11, 31, v18
	v_or_b32_e32 v15, 0x33000000, v11
	v_add_lshl_u32 v12, v12, v13, 23
	v_lshrrev_b32_e32 v9, 9, v9
	v_sub_u32_e32 v12, v15, v12
	v_or_b32_e32 v11, 0.5, v11
	v_lshlrev_b32_e32 v13, 23, v13
	v_or_b32_e32 v9, v12, v9
	v_lshrrev_b32_e32 v12, 9, v16
	v_sub_u32_e32 v11, v11, v13
	v_or_b32_e32 v11, v12, v11
	s_mov_b32 s0, 0x3fc90fda
	v_mul_f32_e32 v12, 0x3fc90fda, v11
	v_fma_f32 v13, v11, s0, -v12
	v_fmamk_f32 v11, v11, 0x33a22168, v13
	v_fmac_f32_e32 v11, 0x3fc90fda, v9
	v_lshrrev_b32_e32 v7, 30, v7
	v_add_f32_e32 v9, v12, v11
	v_add_u32_e32 v7, v19, v7
	s_andn2_saveexec_b64 s[0:1], s[14:15]
	s_cbranch_execz .LBB22_1828
	s_branch .LBB22_1827
.LBB22_1780:
	s_mov_b64 s[0:1], 0
                                        ; implicit-def: $vgpr0_vgpr1
                                        ; implicit-def: $sgpr14
                                        ; implicit-def: $vgpr12
.LBB22_1781:
	s_mov_b64 s[2:3], 0
.LBB22_1782:
	s_and_b64 s[4:5], s[0:1], exec
	s_and_b64 s[40:41], s[2:3], exec
	s_andn2_b64 s[0:1], s[24:25], exec
	s_and_b64 s[2:3], s[6:7], exec
	s_or_b64 s[24:25], s[0:1], s[2:3]
.LBB22_1783:
	s_or_b64 exec, exec, s[26:27]
	s_and_saveexec_b64 s[0:1], s[24:25]
	s_cbranch_execz .LBB22_1786
; %bb.1784:
	; divergent unreachable
	s_or_b64 exec, exec, s[0:1]
	s_and_saveexec_b64 s[0:1], s[40:41]
	s_xor_b64 s[0:1], exec, s[0:1]
	s_cbranch_execnz .LBB22_1787
.LBB22_1785:
	s_or_b64 exec, exec, s[0:1]
	s_and_saveexec_b64 s[0:1], s[4:5]
	s_cbranch_execnz .LBB22_1788
	s_branch .LBB22_1825
.LBB22_1786:
	s_or_b64 exec, exec, s[0:1]
	s_and_saveexec_b64 s[0:1], s[40:41]
	s_xor_b64 s[0:1], exec, s[0:1]
	s_cbranch_execz .LBB22_1785
.LBB22_1787:
	v_cmp_neq_f32_e32 vcc, 0, v12
	s_nop 1
	v_cndmask_b32_e64 v2, 0, 1, vcc
	s_waitcnt vmcnt(0)
	global_store_byte v[0:1], v2, off
	s_or_b64 exec, exec, s[0:1]
	s_and_saveexec_b64 s[0:1], s[4:5]
	s_cbranch_execz .LBB22_1825
.LBB22_1788:
	s_sext_i32_i16 s2, s14
	s_cmp_lt_i32 s2, 5
	s_mov_b64 s[0:1], -1
	s_cbranch_scc1 .LBB22_1809
; %bb.1789:
	s_cmp_lt_i32 s2, 8
	s_cbranch_scc1 .LBB22_1799
; %bb.1790:
	s_cmp_lt_i32 s2, 9
	s_cbranch_scc1 .LBB22_1796
; %bb.1791:
	s_cmp_gt_i32 s2, 9
	s_cbranch_scc0 .LBB22_1793
; %bb.1792:
	v_mov_b32_e32 v4, 0
	v_cvt_f64_f32_e32 v[2:3], v12
	v_mov_b32_e32 v5, v4
	s_waitcnt vmcnt(0)
	global_store_dwordx4 v[0:1], v[2:5], off
	s_mov_b64 s[0:1], 0
.LBB22_1793:
	s_andn2_b64 vcc, exec, s[0:1]
	s_cbranch_vccnz .LBB22_1795
; %bb.1794:
	v_mov_b32_e32 v13, 0
	s_waitcnt vmcnt(0)
	global_store_dwordx2 v[0:1], v[12:13], off
.LBB22_1795:
	s_mov_b64 s[0:1], 0
.LBB22_1796:
	s_andn2_b64 vcc, exec, s[0:1]
	s_cbranch_vccnz .LBB22_1798
; %bb.1797:
	v_cvt_f16_f32_e32 v2, v12
	s_waitcnt vmcnt(0)
	global_store_dword v[0:1], v2, off
.LBB22_1798:
	s_mov_b64 s[0:1], 0
.LBB22_1799:
	s_andn2_b64 vcc, exec, s[0:1]
	s_cbranch_vccnz .LBB22_1808
; %bb.1800:
	s_sext_i32_i16 s2, s14
	s_cmp_lt_i32 s2, 6
	s_mov_b64 s[0:1], -1
	s_cbranch_scc1 .LBB22_1806
; %bb.1801:
	s_cmp_gt_i32 s2, 6
	s_cbranch_scc0 .LBB22_1803
; %bb.1802:
	v_cvt_f64_f32_e32 v[2:3], v12
	s_waitcnt vmcnt(0)
	global_store_dwordx2 v[0:1], v[2:3], off
	s_mov_b64 s[0:1], 0
.LBB22_1803:
	s_andn2_b64 vcc, exec, s[0:1]
	s_cbranch_vccnz .LBB22_1805
; %bb.1804:
	s_waitcnt vmcnt(0)
	global_store_dword v[0:1], v12, off
.LBB22_1805:
	s_mov_b64 s[0:1], 0
.LBB22_1806:
	s_andn2_b64 vcc, exec, s[0:1]
	s_cbranch_vccnz .LBB22_1808
; %bb.1807:
	v_cvt_f16_f32_e32 v2, v12
	s_waitcnt vmcnt(0)
	global_store_short v[0:1], v2, off
.LBB22_1808:
	s_mov_b64 s[0:1], 0
.LBB22_1809:
	s_andn2_b64 vcc, exec, s[0:1]
	s_cbranch_vccnz .LBB22_1825
; %bb.1810:
	s_sext_i32_i16 s2, s14
	s_cmp_lt_i32 s2, 2
	s_mov_b64 s[0:1], -1
	s_cbranch_scc1 .LBB22_1820
; %bb.1811:
	s_cmp_lt_i32 s2, 3
	s_cbranch_scc1 .LBB22_1817
; %bb.1812:
	s_cmp_gt_i32 s2, 3
	s_cbranch_scc0 .LBB22_1814
; %bb.1813:
	v_trunc_f32_e32 v2, v12
	s_mov_b32 s0, 0x2f800000
	v_mul_f32_e64 v3, |v2|, s0
	v_floor_f32_e32 v3, v3
	s_mov_b32 s0, 0xcf800000
	v_cvt_u32_f32_e32 v4, v3
	v_fma_f32 v3, v3, s0, |v2|
	v_cvt_u32_f32_e32 v3, v3
	v_ashrrev_i32_e32 v5, 31, v2
	v_xor_b32_e32 v4, v4, v5
	s_mov_b64 s[0:1], 0
	v_xor_b32_e32 v2, v3, v5
	v_sub_co_u32_e32 v2, vcc, v2, v5
	s_nop 1
	v_subb_co_u32_e32 v3, vcc, v4, v5, vcc
	s_waitcnt vmcnt(0)
	global_store_dwordx2 v[0:1], v[2:3], off
.LBB22_1814:
	s_andn2_b64 vcc, exec, s[0:1]
	s_cbranch_vccnz .LBB22_1816
; %bb.1815:
	v_cvt_i32_f32_e32 v2, v12
	s_waitcnt vmcnt(0)
	global_store_dword v[0:1], v2, off
.LBB22_1816:
	s_mov_b64 s[0:1], 0
.LBB22_1817:
	s_andn2_b64 vcc, exec, s[0:1]
	s_cbranch_vccnz .LBB22_1819
; %bb.1818:
	v_cvt_i32_f32_e32 v2, v12
	s_waitcnt vmcnt(0)
	global_store_short v[0:1], v2, off
.LBB22_1819:
	s_mov_b64 s[0:1], 0
.LBB22_1820:
	s_andn2_b64 vcc, exec, s[0:1]
	s_cbranch_vccnz .LBB22_1825
; %bb.1821:
	s_sext_i32_i16 s0, s14
	s_cmp_gt_i32 s0, 0
	s_mov_b64 s[0:1], -1
	s_cbranch_scc0 .LBB22_1823
; %bb.1822:
	v_cvt_i32_f32_e32 v2, v12
	s_mov_b64 s[0:1], 0
	s_waitcnt vmcnt(0)
	global_store_byte v[0:1], v2, off
.LBB22_1823:
	s_andn2_b64 vcc, exec, s[0:1]
	s_cbranch_vccnz .LBB22_1825
; %bb.1824:
	v_trunc_f32_e32 v2, v12
	s_mov_b32 s0, 0x2f800000
	v_mul_f32_e64 v3, |v2|, s0
	v_floor_f32_e32 v3, v3
	s_mov_b32 s0, 0xcf800000
	v_fma_f32 v3, v3, s0, |v2|
	v_cvt_u32_f32_e32 v3, v3
	v_ashrrev_i32_e32 v2, 31, v2
	v_xor_b32_e32 v3, v3, v2
	v_sub_u32_e32 v2, v3, v2
	s_waitcnt vmcnt(0)
	global_store_byte v[0:1], v2, off
	s_endpgm
.LBB22_1825:
	s_endpgm
.LBB22_1826:
	s_andn2_saveexec_b64 s[0:1], s[14:15]
	s_cbranch_execz .LBB22_1828
.LBB22_1827:
	s_mov_b32 s2, 0x3f22f983
	v_mul_f32_e64 v7, |v3|, s2
	v_rndne_f32_e32 v9, v7
	s_mov_b32 s2, 0xbfc90fda
	v_cvt_i32_f32_e32 v7, v9
	v_fma_f32 v11, v9, s2, |v3|
	v_fmamk_f32 v11, v9, 0xb3a22168, v11
	v_fmamk_f32 v9, v9, 0xa7c234c4, v11
.LBB22_1828:
	s_or_b64 exec, exec, s[0:1]
                                        ; implicit-def: $vgpr11
                                        ; implicit-def: $vgpr12
	s_and_saveexec_b64 s[0:1], s[12:13]
	s_xor_b64 s[12:13], exec, s[0:1]
	s_cbranch_execz .LBB22_1830
; %bb.1829:
	v_lshrrev_b32_e32 v11, 23, v5
	v_add_u32_e32 v11, 0xffffff88, v11
	v_not_b32_e32 v12, 63
	v_cmp_lt_u32_e32 vcc, 63, v11
	s_mov_b32 s4, 0xfe5163ab
	v_mov_b32_e32 v17, 0
	v_cndmask_b32_e32 v12, 0, v12, vcc
	v_add_u32_e32 v11, v12, v11
	v_not_b32_e32 v12, 31
	v_cmp_lt_u32_e64 s[0:1], 31, v11
	s_nop 1
	v_cndmask_b32_e64 v13, 0, v12, s[0:1]
	v_add_u32_e32 v11, v13, v11
	v_cmp_lt_u32_e64 s[2:3], 31, v11
	s_nop 1
	v_cndmask_b32_e64 v12, 0, v12, s[2:3]
	v_add_u32_e32 v11, v12, v11
	v_and_b32_e32 v12, 0x7fffff, v5
	v_or_b32_e32 v15, 0x800000, v12
	v_mad_u64_u32 v[12:13], s[4:5], v15, s4, 0
	v_mov_b32_e32 v16, v13
	s_mov_b32 s4, 0x3c439041
	v_mad_u64_u32 v[18:19], s[4:5], v15, s4, v[16:17]
	v_mov_b32_e32 v16, v19
	s_mov_b32 s4, 0xdb629599
	;; [unrolled: 3-line block ×6, first 2 shown]
	v_mad_u64_u32 v[16:17], s[4:5], v15, s4, v[16:17]
	v_cndmask_b32_e32 v13, v26, v22, vcc
	v_cndmask_b32_e32 v15, v16, v24, vcc
	v_cndmask_b32_e32 v17, v17, v26, vcc
	v_cndmask_b32_e64 v16, v15, v13, s[0:1]
	v_cndmask_b32_e64 v15, v17, v15, s[0:1]
	v_cndmask_b32_e32 v17, v24, v20, vcc
	v_cndmask_b32_e64 v13, v13, v17, s[0:1]
	v_cndmask_b32_e64 v15, v15, v16, s[2:3]
	;; [unrolled: 1-line block ×3, first 2 shown]
	v_sub_u32_e32 v19, 32, v11
	v_alignbit_b32 v21, v15, v16, v19
	v_cmp_eq_u32_e64 s[4:5], 0, v11
	v_cndmask_b32_e32 v12, v20, v12, vcc
	s_nop 0
	v_cndmask_b32_e64 v11, v21, v15, s[4:5]
	v_cndmask_b32_e32 v15, v22, v18, vcc
	v_cndmask_b32_e64 v17, v17, v15, s[0:1]
	v_cndmask_b32_e64 v13, v13, v17, s[2:3]
	v_alignbit_b32 v18, v16, v13, v19
	v_cndmask_b32_e64 v12, v15, v12, s[0:1]
	v_cndmask_b32_e64 v16, v18, v16, s[4:5]
	v_bfe_u32 v22, v11, 29, 1
	v_cndmask_b32_e64 v12, v17, v12, s[2:3]
	v_alignbit_b32 v18, v11, v16, 30
	v_sub_u32_e32 v23, 0, v22
	v_alignbit_b32 v15, v13, v12, v19
	v_xor_b32_e32 v18, v18, v23
	v_cndmask_b32_e64 v13, v15, v13, s[4:5]
	v_alignbit_b32 v15, v16, v13, 30
	v_ffbh_u32_e32 v16, v18
	v_min_u32_e32 v16, 32, v16
	v_alignbit_b32 v12, v13, v12, 30
	v_xor_b32_e32 v15, v15, v23
	v_sub_u32_e32 v17, 31, v16
	v_xor_b32_e32 v12, v12, v23
	v_alignbit_b32 v18, v18, v15, v17
	v_alignbit_b32 v12, v15, v12, v17
	;; [unrolled: 1-line block ×3, first 2 shown]
	v_ffbh_u32_e32 v15, v13
	v_min_u32_e32 v15, 32, v15
	v_lshrrev_b32_e32 v21, 29, v11
	v_not_b32_e32 v17, v15
	v_alignbit_b32 v12, v13, v12, v17
	v_lshlrev_b32_e32 v13, 31, v21
	v_or_b32_e32 v17, 0x33000000, v13
	v_add_lshl_u32 v15, v15, v16, 23
	v_lshrrev_b32_e32 v12, 9, v12
	v_sub_u32_e32 v15, v17, v15
	v_or_b32_e32 v13, 0.5, v13
	v_lshlrev_b32_e32 v16, 23, v16
	v_or_b32_e32 v12, v15, v12
	v_lshrrev_b32_e32 v15, 9, v18
	v_sub_u32_e32 v13, v13, v16
	v_or_b32_e32 v13, v15, v13
	s_mov_b32 s0, 0x3fc90fda
	v_mul_f32_e32 v15, 0x3fc90fda, v13
	v_fma_f32 v16, v13, s0, -v15
	v_fmamk_f32 v13, v13, 0x33a22168, v16
	v_fmac_f32_e32 v13, 0x3fc90fda, v12
	v_lshrrev_b32_e32 v11, 30, v11
	v_add_f32_e32 v12, v15, v13
	v_add_u32_e32 v11, v22, v11
	s_andn2_saveexec_b64 s[0:1], s[12:13]
	s_cbranch_execnz .LBB22_1831
	s_branch .LBB22_1832
.LBB22_1830:
	s_andn2_saveexec_b64 s[0:1], s[12:13]
	s_cbranch_execz .LBB22_1832
.LBB22_1831:
	s_mov_b32 s2, 0x3f22f983
	v_mul_f32_e64 v11, |v3|, s2
	v_rndne_f32_e32 v12, v11
	s_mov_b32 s2, 0xbfc90fda
	v_cvt_i32_f32_e32 v11, v12
	v_fma_f32 v13, v12, s2, |v3|
	v_fmamk_f32 v13, v12, 0xb3a22168, v13
	v_fmamk_f32 v12, v12, 0xa7c234c4, v13
.LBB22_1832:
	s_or_b64 exec, exec, s[0:1]
	s_mov_b32 s2, 0x40a00000
	v_div_scale_f32 v13, s[0:1], v1, v1, s2
	v_rcp_f32_e32 v15, v13
	v_div_scale_f32 v16, vcc, s2, v1, s2
	v_mov_b32_e32 v19, 0x42947983
	v_fma_f32 v17, -v13, v15, 1.0
	v_fmac_f32_e32 v15, v17, v15
	v_mul_f32_e32 v17, v16, v15
	v_fma_f32 v18, -v13, v17, v16
	v_fmac_f32_e32 v17, v18, v15
	v_fma_f32 v13, -v13, v17, v16
	v_div_fmas_f32 v13, v13, v15, v17
	v_div_fixup_f32 v13, v13, v1, s2
	v_mul_f32_e32 v15, v13, v13
	v_mov_b32_e32 v16, 0x3a47c962
	v_mov_b32_e32 v17, 0x3a15c4d9
	v_fmac_f32_e32 v16, 0, v15
	v_fmac_f32_e32 v17, 0, v15
	v_fmaak_f32 v16, v15, v16, 0x3d95ca45
	v_fmaak_f32 v17, v15, v17, 0x3d8cfeeb
	;; [unrolled: 1-line block ×8, first 2 shown]
	v_mov_b32_e32 v18, 0x3d513fd3
	v_fmaak_f32 v16, v15, v16, 0x40a6dd51
	v_fmaak_f32 v17, v15, v17, 0x40a6b6ea
	v_fmac_f32_e32 v18, 0, v15
	v_fma_f32 v17, v15, v17, 1.0
	v_fmaak_f32 v18, v15, v18, 0x409f6dae
	v_fmac_f32_e32 v19, 0, v15
	v_fma_f32 v16, v15, v16, 1.0
	v_fmaak_f32 v18, v15, v18, 0x4297a5cd
	v_fmaak_f32 v19, v15, v19, 0x44840e5d
	v_div_scale_f32 v20, s[0:1], v17, v17, v16
	v_fmaak_f32 v18, v15, v18, 0x43b763ca
	v_fmaak_f32 v19, v15, v19, 0x459bd349
	v_rcp_f32_e32 v21, v20
	v_fmaak_f32 v18, v15, v18, 0x4431b6ce
	v_fmaak_f32 v19, v15, v19, 0x46156947
	;; [unrolled: 1-line block ×8, first 2 shown]
	v_fma_f32 v19, -v20, v21, 1.0
	v_fmac_f32_e32 v21, v19, v21
	v_div_scale_f32 v19, vcc, v16, v17, v16
	v_mul_f32_e32 v22, v19, v21
	v_fma_f32 v23, -v20, v22, v19
	v_fmac_f32_e32 v22, v23, v21
	v_fma_f32 v19, -v20, v22, v19
	v_div_fmas_f32 v19, v19, v21, v22
	v_div_fixup_f32 v16, v19, v17, v16
	v_mul_f32_e32 v17, v9, v9
	v_mov_b32_e32 v19, 0x3c0881c4
	v_fmamk_f32 v20, v17, 0xb94c1982, v19
	v_fmaak_f32 v20, v17, v20, 0xbe2aaa9d
	v_mul_f32_e32 v20, v17, v20
	v_fmac_f32_e32 v9, v9, v20
	v_mov_b32_e32 v20, 0xbab64f3b
	v_fmamk_f32 v22, v17, 0x37d75334, v20
	v_fmaak_f32 v22, v17, v22, 0x3d2aabf7
	v_fmaak_f32 v22, v17, v22, 0xbf000004
	v_fma_f32 v17, v17, v22, 1.0
	v_and_b32_e32 v22, 1, v7
	v_lshlrev_b32_e32 v7, 30, v7
	v_cmp_eq_u32_e32 vcc, 0, v22
	v_and_b32_e32 v7, 0x80000000, v7
	v_xor_b32_e32 v5, v5, v3
	v_cndmask_b32_e32 v9, v17, v9, vcc
	v_xor_b32_e32 v5, v5, v7
	v_div_scale_f32 v7, s[0:1], v15, v15, v18
	v_xor_b32_e32 v5, v5, v9
	v_rcp_f32_e32 v9, v7
	s_movk_i32 s3, 0x1f8
	v_mov_b32_e32 v17, 0x7fc00000
	v_cmp_class_f32_e64 s[0:1], v3, s3
	v_mov_b32_e32 v21, 0xbe2aaa9d
	v_mov_b32_e32 v23, 0x3d2aabf7
	v_cndmask_b32_e64 v3, v17, v5, s[0:1]
	v_fma_f32 v5, -v7, v9, 1.0
	v_fmac_f32_e32 v9, v5, v9
	v_div_scale_f32 v5, vcc, v18, v15, v18
	v_mul_f32_e32 v22, v5, v9
	v_fma_f32 v25, -v7, v22, v5
	v_fmac_f32_e32 v22, v25, v9
	v_fma_f32 v5, -v7, v22, v5
	v_mul_f32_e32 v7, v12, v12
	v_fmac_f32_e32 v19, 0xb94c1982, v7
	v_fmac_f32_e32 v21, v7, v19
	;; [unrolled: 1-line block ×3, first 2 shown]
	v_mov_b32_e32 v24, 0xbf000004
	v_div_fmas_f32 v5, v5, v9, v22
	v_mul_f32_e32 v9, v7, v21
	v_fmac_f32_e32 v23, v7, v20
	v_fmac_f32_e32 v12, v12, v9
	;; [unrolled: 1-line block ×3, first 2 shown]
	v_and_b32_e32 v9, 1, v11
	v_fma_f32 v7, v7, v24, 1.0
	v_cmp_eq_u32_e32 vcc, 0, v9
	s_brev_b32 s2, 1
	v_lshlrev_b32_e32 v9, 30, v11
	v_cndmask_b32_e64 v7, -v12, v7, vcc
	v_bitop3_b32 v7, v9, v7, s2 bitop3:0x6c
	v_cndmask_b32_e64 v7, v17, v7, s[0:1]
	s_mov_b32 s0, 0xf800000
	v_mul_f32_e32 v9, 0x4f800000, v1
	v_cmp_gt_f32_e32 vcc, s0, v1
	v_div_fixup_f32 v5, v5, v15, v18
	v_mul_f32_e32 v5, v13, v5
	v_cndmask_b32_e32 v1, v1, v9, vcc
	v_sqrt_f32_e32 v9, v1
	v_mul_f32_e32 v5, v5, v7
	v_fmac_f32_e32 v5, v16, v3
	v_mul_f32_e32 v3, 0x3f4c422a, v5
	v_add_u32_e32 v5, -1, v9
	v_fma_f32 v7, -v5, v9, v1
	v_cmp_ge_f32_e64 s[0:1], 0, v7
	v_add_u32_e32 v7, 1, v9
	s_nop 0
	v_cndmask_b32_e64 v5, v9, v5, s[0:1]
	v_fma_f32 v9, -v7, v9, v1
	v_cmp_lt_f32_e64 s[0:1], 0, v9
	s_nop 1
	v_cndmask_b32_e64 v5, v5, v7, s[0:1]
	v_mul_f32_e32 v7, 0x37800000, v5
	v_cndmask_b32_e32 v5, v5, v7, vcc
	v_mov_b32_e32 v7, 0x260
	v_cmp_class_f32_e32 vcc, v1, v7
	s_nop 1
	v_cndmask_b32_e32 v1, v5, v1, vcc
	v_div_scale_f32 v5, s[0:1], v1, v1, v3
	v_rcp_f32_e32 v7, v5
	s_nop 0
	v_fma_f32 v9, -v5, v7, 1.0
	v_fmac_f32_e32 v7, v9, v7
	v_div_scale_f32 v9, vcc, v3, v1, v3
	v_mul_f32_e32 v11, v9, v7
	v_fma_f32 v12, -v5, v11, v9
	v_fmac_f32_e32 v11, v12, v7
	v_fma_f32 v5, -v5, v11, v9
	v_div_fmas_f32 v5, v5, v7, v11
	v_div_fixup_f32 v12, v5, v1, v3
.LBB22_1833:
	s_or_b64 exec, exec, s[10:11]
	s_bfe_u32 s14, s18, 0x80008
	v_mov_b32_e32 v7, 0
	s_cmp_lt_i32 s14, 11
	v_lshl_add_u64 v[6:7], s[8:9], 0, v[6:7]
	s_cbranch_scc1 .LBB22_1911
; %bb.1834:
	s_and_b32 s15, 0xffff, s14
	s_mov_b64 s[10:11], -1
	s_mov_b64 s[2:3], 0
	s_cmp_gt_i32 s15, 25
	s_mov_b64 s[4:5], 0
	s_mov_b64 s[0:1], 0
	s_cbranch_scc0 .LBB22_1867
; %bb.1835:
	s_cmp_gt_i32 s15, 28
	s_cbranch_scc0 .LBB22_1850
; %bb.1836:
	s_cmp_gt_i32 s15, 43
	;; [unrolled: 3-line block ×3, first 2 shown]
	s_cbranch_scc0 .LBB22_1840
; %bb.1838:
	s_mov_b64 s[0:1], -1
	s_mov_b64 s[10:11], 0
	s_cmp_eq_u32 s15, 46
	s_cbranch_scc0 .LBB22_1840
; %bb.1839:
	v_bfe_u32 v1, v8, 16, 1
	s_movk_i32 s0, 0x7fff
	v_add3_u32 v1, v8, v1, s0
	v_cmp_o_f32_e32 vcc, v8, v8
	v_mov_b32_e32 v3, 0x7fc0
	s_mov_b64 s[0:1], 0
	v_cndmask_b32_sdwa v1, v3, v1, vcc dst_sel:DWORD dst_unused:UNUSED_PAD src0_sel:DWORD src1_sel:WORD_1
	global_store_dword v[6:7], v1, off
	s_mov_b64 s[4:5], -1
.LBB22_1840:
	s_and_b64 vcc, exec, s[10:11]
	s_cbranch_vccz .LBB22_1845
; %bb.1841:
	s_cmp_eq_u32 s15, 44
	s_mov_b64 s[0:1], -1
	s_cbranch_scc0 .LBB22_1845
; %bb.1842:
	v_bfe_u32 v1, v8, 23, 8
	s_movk_i32 s0, 0xff
	v_cmp_ne_u32_e32 vcc, s0, v1
	v_mov_b32_e32 v3, 0xff
	s_and_saveexec_b64 s[4:5], vcc
; %bb.1843:
	s_mov_b32 s0, 0x3fffff
	v_and_b32_e32 v5, 0x400000, v8
	v_and_or_b32 v1, v8, s0, v1
	v_cmp_ne_u32_e32 vcc, 0, v5
	v_cmp_ne_u32_e64 s[0:1], 0, v1
	s_and_b64 s[0:1], vcc, s[0:1]
	v_lshrrev_b32_e32 v3, 23, v8
	v_cndmask_b32_e64 v1, 0, 1, s[0:1]
	v_add_u32_e32 v3, v3, v1
; %bb.1844:
	s_or_b64 exec, exec, s[4:5]
	s_mov_b64 s[0:1], 0
	s_mov_b64 s[4:5], -1
	global_store_byte v[6:7], v3, off
.LBB22_1845:
	s_mov_b64 s[10:11], 0
.LBB22_1846:
	s_and_b64 vcc, exec, s[10:11]
	s_cbranch_vccz .LBB22_1849
; %bb.1847:
	s_cmp_eq_u32 s15, 29
	s_mov_b64 s[0:1], -1
	s_cbranch_scc0 .LBB22_1849
; %bb.1848:
	v_trunc_f32_e32 v1, v8
	v_mul_f32_e32 v3, 0x2f800000, v1
	v_floor_f32_e32 v3, v3
	v_fmamk_f32 v1, v3, 0xcf800000, v1
	v_cvt_u32_f32_e32 v17, v3
	v_cvt_u32_f32_e32 v16, v1
	s_mov_b64 s[0:1], 0
	s_mov_b64 s[4:5], -1
	global_store_dwordx2 v[6:7], v[16:17], off
.LBB22_1849:
	s_mov_b64 s[10:11], 0
.LBB22_1850:
	s_and_b64 vcc, exec, s[10:11]
	s_cbranch_vccz .LBB22_1866
; %bb.1851:
	s_cmp_lt_i32 s15, 27
	s_mov_b64 s[4:5], -1
	s_cbranch_scc1 .LBB22_1857
; %bb.1852:
	v_cvt_u32_f32_e32 v1, v8
	s_cmp_gt_i32 s15, 27
	s_cbranch_scc0 .LBB22_1854
; %bb.1853:
	s_mov_b64 s[4:5], 0
	global_store_dword v[6:7], v1, off
.LBB22_1854:
	s_andn2_b64 vcc, exec, s[4:5]
	s_cbranch_vccnz .LBB22_1856
; %bb.1855:
	global_store_short v[6:7], v1, off
.LBB22_1856:
	s_mov_b64 s[4:5], 0
.LBB22_1857:
	s_andn2_b64 vcc, exec, s[4:5]
	s_cbranch_vccnz .LBB22_1865
; %bb.1858:
	v_and_b32_e32 v1, 0x7fffffff, v8
	s_mov_b32 s4, 0x43800000
	v_cmp_gt_u32_e32 vcc, s4, v1
	v_mov_b32_e32 v3, 0x80
	s_and_saveexec_b64 s[4:5], vcc
	s_cbranch_execz .LBB22_1864
; %bb.1859:
	s_mov_b32 s10, 0x3bffffff
	v_cmp_lt_u32_e32 vcc, s10, v1
	s_mov_b64 s[10:11], 0
                                        ; implicit-def: $vgpr1
	s_and_saveexec_b64 s[12:13], vcc
	s_xor_b64 s[12:13], exec, s[12:13]
	s_cbranch_execz .LBB22_2269
; %bb.1860:
	v_bfe_u32 v1, v8, 20, 1
	s_mov_b32 s16, 0x487ffff
	v_add3_u32 v1, v8, v1, s16
	s_mov_b64 s[10:11], exec
	v_lshrrev_b32_e32 v1, 20, v1
	s_andn2_saveexec_b64 s[12:13], s[12:13]
	s_cbranch_execnz .LBB22_2270
.LBB22_1861:
	s_or_b64 exec, exec, s[12:13]
	v_mov_b32_e32 v3, 0
	s_and_saveexec_b64 s[12:13], s[10:11]
.LBB22_1862:
	v_lshrrev_b32_e32 v3, 24, v8
	s_movk_i32 s10, 0x80
	v_and_or_b32 v3, v3, s10, v1
.LBB22_1863:
	s_or_b64 exec, exec, s[12:13]
.LBB22_1864:
	s_or_b64 exec, exec, s[4:5]
	global_store_byte v[6:7], v3, off
.LBB22_1865:
	s_mov_b64 s[4:5], -1
.LBB22_1866:
	s_mov_b64 s[10:11], 0
.LBB22_1867:
	s_and_b64 vcc, exec, s[10:11]
	s_cbranch_vccz .LBB22_1907
; %bb.1868:
	s_cmp_gt_i32 s15, 22
	s_mov_b64 s[2:3], -1
	s_cbranch_scc0 .LBB22_1900
; %bb.1869:
	s_cmp_lt_i32 s15, 24
	s_cbranch_scc1 .LBB22_1889
; %bb.1870:
	s_cmp_gt_i32 s15, 24
	s_cbranch_scc0 .LBB22_1878
; %bb.1871:
	v_and_b32_e32 v1, 0x7fffffff, v8
	s_mov_b32 s2, 0x47800000
	v_cmp_gt_u32_e32 vcc, s2, v1
	v_mov_b32_e32 v3, 0x80
	s_and_saveexec_b64 s[2:3], vcc
	s_cbranch_execz .LBB22_1877
; %bb.1872:
	s_mov_b32 s4, 0x37ffffff
	v_cmp_lt_u32_e32 vcc, s4, v1
	s_mov_b64 s[4:5], 0
                                        ; implicit-def: $vgpr1
	s_and_saveexec_b64 s[10:11], vcc
	s_xor_b64 s[10:11], exec, s[10:11]
	s_cbranch_execz .LBB22_2272
; %bb.1873:
	v_bfe_u32 v1, v8, 21, 1
	s_mov_b32 s12, 0x88fffff
	v_add3_u32 v1, v8, v1, s12
	s_mov_b64 s[4:5], exec
	v_lshrrev_b32_e32 v1, 21, v1
	s_andn2_saveexec_b64 s[10:11], s[10:11]
	s_cbranch_execnz .LBB22_2273
.LBB22_1874:
	s_or_b64 exec, exec, s[10:11]
	v_mov_b32_e32 v3, 0
	s_and_saveexec_b64 s[10:11], s[4:5]
.LBB22_1875:
	v_lshrrev_b32_e32 v3, 24, v8
	s_movk_i32 s4, 0x80
	v_and_or_b32 v3, v3, s4, v1
.LBB22_1876:
	s_or_b64 exec, exec, s[10:11]
.LBB22_1877:
	s_or_b64 exec, exec, s[2:3]
	s_mov_b64 s[2:3], 0
	global_store_byte v[6:7], v3, off
.LBB22_1878:
	s_and_b64 vcc, exec, s[2:3]
	s_cbranch_vccz .LBB22_1888
; %bb.1879:
	v_and_b32_e32 v3, 0x7fffffff, v8
	s_mov_b32 s2, 0x43f00000
	v_cmp_gt_u32_e32 vcc, s2, v3
                                        ; implicit-def: $vgpr1
	s_and_saveexec_b64 s[2:3], vcc
	s_xor_b64 s[2:3], exec, s[2:3]
	s_cbranch_execz .LBB22_1885
; %bb.1880:
	s_mov_b32 s4, 0x3c7fffff
	v_cmp_lt_u32_e32 vcc, s4, v3
                                        ; implicit-def: $vgpr1
	s_and_saveexec_b64 s[4:5], vcc
	s_xor_b64 s[4:5], exec, s[4:5]
; %bb.1881:
	v_bfe_u32 v1, v8, 20, 1
	s_mov_b32 s10, 0x407ffff
	v_add3_u32 v1, v8, v1, s10
	v_lshrrev_b32_e32 v3, 20, v1
	v_and_b32_e32 v1, 0xff00000, v1
	s_mov_b32 s10, 0x7f00000
	v_mov_b32_e32 v5, 0x7e
	v_cmp_ne_u32_e32 vcc, s10, v1
	s_nop 1
	v_cndmask_b32_e32 v1, v5, v3, vcc
; %bb.1882:
	s_andn2_saveexec_b64 s[4:5], s[4:5]
; %bb.1883:
	s_mov_b32 s10, 0x46800000
	v_add_f32_e64 v1, |v8|, s10
; %bb.1884:
	s_or_b64 exec, exec, s[4:5]
                                        ; implicit-def: $vgpr3
.LBB22_1885:
	s_andn2_saveexec_b64 s[2:3], s[2:3]
; %bb.1886:
	s_mov_b32 s4, 0x7f800000
	v_mov_b32_e32 v1, 0x7e
	v_mov_b32_e32 v5, 0x7f
	v_cmp_lt_u32_e32 vcc, s4, v3
	s_nop 1
	v_cndmask_b32_e32 v1, v1, v5, vcc
; %bb.1887:
	s_or_b64 exec, exec, s[2:3]
	v_lshrrev_b32_e32 v3, 24, v8
	s_movk_i32 s2, 0x80
	v_and_or_b32 v1, v3, s2, v1
	global_store_byte v[6:7], v1, off
.LBB22_1888:
	s_mov_b64 s[2:3], 0
.LBB22_1889:
	s_andn2_b64 vcc, exec, s[2:3]
	s_cbranch_vccnz .LBB22_1899
; %bb.1890:
	v_and_b32_e32 v3, 0x7fffffff, v8
	s_mov_b32 s2, 0x47800000
	v_cmp_gt_u32_e32 vcc, s2, v3
                                        ; implicit-def: $vgpr1
	s_and_saveexec_b64 s[2:3], vcc
	s_xor_b64 s[2:3], exec, s[2:3]
	s_cbranch_execz .LBB22_1896
; %bb.1891:
	s_mov_b32 s4, 0x387fffff
	v_cmp_lt_u32_e32 vcc, s4, v3
                                        ; implicit-def: $vgpr1
	s_and_saveexec_b64 s[4:5], vcc
	s_xor_b64 s[4:5], exec, s[4:5]
; %bb.1892:
	v_bfe_u32 v1, v8, 21, 1
	s_mov_b32 s10, 0x80fffff
	v_add3_u32 v1, v8, v1, s10
	v_lshrrev_b32_e32 v1, 21, v1
; %bb.1893:
	s_andn2_saveexec_b64 s[4:5], s[4:5]
; %bb.1894:
	s_mov_b32 s10, 0x43000000
	v_add_f32_e64 v1, |v8|, s10
; %bb.1895:
	s_or_b64 exec, exec, s[4:5]
                                        ; implicit-def: $vgpr3
.LBB22_1896:
	s_andn2_saveexec_b64 s[2:3], s[2:3]
; %bb.1897:
	s_mov_b32 s4, 0x7f800000
	v_mov_b32_e32 v1, 0x7c
	v_mov_b32_e32 v5, 0x7f
	v_cmp_lt_u32_e32 vcc, s4, v3
	s_nop 1
	v_cndmask_b32_e32 v1, v1, v5, vcc
; %bb.1898:
	s_or_b64 exec, exec, s[2:3]
	v_lshrrev_b32_e32 v3, 24, v8
	s_movk_i32 s2, 0x80
	v_and_or_b32 v1, v3, s2, v1
	global_store_byte v[6:7], v1, off
.LBB22_1899:
	s_mov_b64 s[2:3], 0
	s_mov_b64 s[4:5], -1
.LBB22_1900:
	s_andn2_b64 vcc, exec, s[2:3]
	s_mov_b64 s[2:3], 0
	s_cbranch_vccnz .LBB22_1907
; %bb.1901:
	s_cmp_gt_i32 s15, 14
	s_mov_b64 s[10:11], -1
	s_cbranch_scc0 .LBB22_1905
; %bb.1902:
	s_cmp_eq_u32 s15, 15
	s_mov_b64 s[0:1], -1
	s_cbranch_scc0 .LBB22_1904
; %bb.1903:
	v_bfe_u32 v1, v8, 16, 1
	s_movk_i32 s0, 0x7fff
	v_add3_u32 v1, v8, v1, s0
	v_cmp_o_f32_e32 vcc, v8, v8
	v_mov_b32_e32 v3, 0x7fc0
	s_mov_b64 s[0:1], 0
	v_cndmask_b32_sdwa v1, v3, v1, vcc dst_sel:DWORD dst_unused:UNUSED_PAD src0_sel:DWORD src1_sel:WORD_1
	global_store_short v[6:7], v1, off
	s_mov_b64 s[4:5], -1
.LBB22_1904:
	s_mov_b64 s[10:11], 0
.LBB22_1905:
	s_and_b64 vcc, exec, s[10:11]
	s_cbranch_vccz .LBB22_1907
; %bb.1906:
	s_cmp_lg_u32 s15, 11
	s_mov_b64 s[2:3], -1
	s_cselect_b64 s[0:1], -1, 0
.LBB22_1907:
	s_and_b64 vcc, exec, s[0:1]
	s_cbranch_vccnz .LBB22_2271
; %bb.1908:
	s_andn2_b64 vcc, exec, s[2:3]
	s_cbranch_vccnz .LBB22_1910
.LBB22_1909:
	v_cmp_neq_f32_e32 vcc, 0, v8
	s_mov_b64 s[4:5], -1
	s_nop 0
	v_cndmask_b32_e64 v1, 0, 1, vcc
	global_store_byte v[6:7], v1, off
.LBB22_1910:
	s_mov_b64 s[0:1], 0
	s_branch .LBB22_1912
.LBB22_1911:
	s_mov_b64 s[0:1], -1
	s_mov_b64 s[4:5], 0
.LBB22_1912:
	s_and_b64 vcc, exec, s[0:1]
	s_cbranch_vccz .LBB22_1951
; %bb.1913:
	s_and_b32 s2, 0xffff, s14
	s_cmp_lt_i32 s2, 5
	s_mov_b64 s[0:1], -1
	s_cbranch_scc1 .LBB22_1934
; %bb.1914:
	s_cmp_lt_i32 s2, 8
	s_cbranch_scc1 .LBB22_1924
; %bb.1915:
	s_cmp_lt_i32 s2, 9
	s_cbranch_scc1 .LBB22_1921
; %bb.1916:
	s_cmp_gt_i32 s2, 9
	s_cbranch_scc0 .LBB22_1918
; %bb.1917:
	v_mov_b32_e32 v18, 0
	v_cvt_f64_f32_e32 v[16:17], v8
	v_mov_b32_e32 v19, v18
	global_store_dwordx4 v[6:7], v[16:19], off
	s_mov_b64 s[0:1], 0
.LBB22_1918:
	s_andn2_b64 vcc, exec, s[0:1]
	s_cbranch_vccnz .LBB22_1920
; %bb.1919:
	v_mov_b32_e32 v9, 0
	global_store_dwordx2 v[6:7], v[8:9], off
.LBB22_1920:
	s_mov_b64 s[0:1], 0
.LBB22_1921:
	s_andn2_b64 vcc, exec, s[0:1]
	s_cbranch_vccnz .LBB22_1923
; %bb.1922:
	v_cvt_f16_f32_e32 v1, v8
	global_store_dword v[6:7], v1, off
.LBB22_1923:
	s_mov_b64 s[0:1], 0
.LBB22_1924:
	s_andn2_b64 vcc, exec, s[0:1]
	s_cbranch_vccnz .LBB22_1933
; %bb.1925:
	s_cmp_lt_i32 s2, 6
	s_mov_b64 s[0:1], -1
	s_cbranch_scc1 .LBB22_1931
; %bb.1926:
	s_cmp_gt_i32 s2, 6
	s_cbranch_scc0 .LBB22_1928
; %bb.1927:
	v_cvt_f64_f32_e32 v[16:17], v8
	global_store_dwordx2 v[6:7], v[16:17], off
	s_mov_b64 s[0:1], 0
.LBB22_1928:
	s_andn2_b64 vcc, exec, s[0:1]
	s_cbranch_vccnz .LBB22_1930
; %bb.1929:
	global_store_dword v[6:7], v8, off
.LBB22_1930:
	s_mov_b64 s[0:1], 0
.LBB22_1931:
	s_andn2_b64 vcc, exec, s[0:1]
	s_cbranch_vccnz .LBB22_1933
; %bb.1932:
	v_cvt_f16_f32_e32 v1, v8
	global_store_short v[6:7], v1, off
.LBB22_1933:
	s_mov_b64 s[0:1], 0
.LBB22_1934:
	s_andn2_b64 vcc, exec, s[0:1]
	s_cbranch_vccnz .LBB22_1950
; %bb.1935:
	s_cmp_lt_i32 s2, 2
	s_mov_b64 s[0:1], -1
	s_cbranch_scc1 .LBB22_1945
; %bb.1936:
	s_cmp_lt_i32 s2, 3
	s_cbranch_scc1 .LBB22_1942
; %bb.1937:
	s_cmp_gt_i32 s2, 3
	s_cbranch_scc0 .LBB22_1939
; %bb.1938:
	v_trunc_f32_e32 v1, v8
	s_mov_b32 s0, 0x2f800000
	v_mul_f32_e64 v3, |v1|, s0
	v_floor_f32_e32 v3, v3
	s_mov_b32 s0, 0xcf800000
	v_cvt_u32_f32_e32 v5, v3
	v_fma_f32 v3, v3, s0, |v1|
	v_cvt_u32_f32_e32 v3, v3
	v_ashrrev_i32_e32 v1, 31, v1
	v_xor_b32_e32 v5, v5, v1
	s_mov_b64 s[0:1], 0
	v_xor_b32_e32 v3, v3, v1
	v_sub_co_u32_e32 v16, vcc, v3, v1
	s_nop 1
	v_subb_co_u32_e32 v17, vcc, v5, v1, vcc
	global_store_dwordx2 v[6:7], v[16:17], off
.LBB22_1939:
	s_andn2_b64 vcc, exec, s[0:1]
	s_cbranch_vccnz .LBB22_1941
; %bb.1940:
	v_cvt_i32_f32_e32 v1, v8
	global_store_dword v[6:7], v1, off
.LBB22_1941:
	s_mov_b64 s[0:1], 0
.LBB22_1942:
	s_andn2_b64 vcc, exec, s[0:1]
	s_cbranch_vccnz .LBB22_1944
; %bb.1943:
	v_cvt_i32_f32_e32 v1, v8
	global_store_short v[6:7], v1, off
.LBB22_1944:
	s_mov_b64 s[0:1], 0
.LBB22_1945:
	s_andn2_b64 vcc, exec, s[0:1]
	s_cbranch_vccnz .LBB22_1950
; %bb.1946:
	s_cmp_gt_i32 s2, 0
	s_mov_b64 s[0:1], -1
	s_cbranch_scc0 .LBB22_1948
; %bb.1947:
	v_cvt_i32_f32_e32 v1, v8
	s_mov_b64 s[0:1], 0
	global_store_byte v[6:7], v1, off
.LBB22_1948:
	s_andn2_b64 vcc, exec, s[0:1]
	s_cbranch_vccnz .LBB22_1950
; %bb.1949:
	v_trunc_f32_e32 v1, v8
	s_mov_b32 s0, 0x2f800000
	v_mul_f32_e64 v3, |v1|, s0
	v_floor_f32_e32 v3, v3
	s_mov_b32 s0, 0xcf800000
	v_fma_f32 v3, v3, s0, |v1|
	v_cvt_u32_f32_e32 v3, v3
	v_ashrrev_i32_e32 v1, 31, v1
	v_xor_b32_e32 v3, v3, v1
	v_sub_u32_e32 v1, v3, v1
	global_store_byte v[6:7], v1, off
.LBB22_1950:
	s_mov_b64 s[4:5], -1
.LBB22_1951:
	s_andn2_b64 vcc, exec, s[4:5]
	s_cbranch_vccnz .LBB22_2266
; %bb.1952:
	s_lshr_b32 s0, s18, 8
	s_and_b32 s14, s0, 0xff
	v_mov_b32_e32 v5, 0
	s_cmp_lt_i32 s14, 11
	v_lshl_add_u64 v[4:5], s[8:9], 0, v[4:5]
	s_cbranch_scc1 .LBB22_2030
; %bb.1953:
	s_and_b32 s15, 0xffff, s14
	s_mov_b64 s[10:11], -1
	s_mov_b64 s[2:3], 0
	s_cmp_gt_i32 s15, 25
	s_mov_b64 s[4:5], 0
	s_mov_b64 s[0:1], 0
	s_cbranch_scc0 .LBB22_1986
; %bb.1954:
	s_cmp_gt_i32 s15, 28
	s_cbranch_scc0 .LBB22_1969
; %bb.1955:
	s_cmp_gt_i32 s15, 43
	s_cbranch_scc0 .LBB22_1965
; %bb.1956:
	s_cmp_gt_i32 s15, 45
	s_cbranch_scc0 .LBB22_1959
; %bb.1957:
	s_mov_b64 s[0:1], -1
	s_mov_b64 s[10:11], 0
	s_cmp_eq_u32 s15, 46
	s_cbranch_scc0 .LBB22_1959
; %bb.1958:
	v_bfe_u32 v1, v10, 16, 1
	s_movk_i32 s0, 0x7fff
	v_add3_u32 v1, v10, v1, s0
	v_cmp_o_f32_e32 vcc, v10, v10
	v_mov_b32_e32 v3, 0x7fc0
	s_mov_b64 s[0:1], 0
	v_cndmask_b32_sdwa v1, v3, v1, vcc dst_sel:DWORD dst_unused:UNUSED_PAD src0_sel:DWORD src1_sel:WORD_1
	global_store_dword v[4:5], v1, off
	s_mov_b64 s[4:5], -1
.LBB22_1959:
	s_and_b64 vcc, exec, s[10:11]
	s_cbranch_vccz .LBB22_1964
; %bb.1960:
	s_cmp_eq_u32 s15, 44
	s_mov_b64 s[0:1], -1
	s_cbranch_scc0 .LBB22_1964
; %bb.1961:
	v_bfe_u32 v1, v10, 23, 8
	s_movk_i32 s0, 0xff
	v_cmp_ne_u32_e32 vcc, s0, v1
	v_mov_b32_e32 v3, 0xff
	s_and_saveexec_b64 s[4:5], vcc
; %bb.1962:
	s_mov_b32 s0, 0x3fffff
	v_and_b32_e32 v6, 0x400000, v10
	v_and_or_b32 v1, v10, s0, v1
	v_cmp_ne_u32_e32 vcc, 0, v6
	v_cmp_ne_u32_e64 s[0:1], 0, v1
	s_and_b64 s[0:1], vcc, s[0:1]
	v_lshrrev_b32_e32 v3, 23, v10
	v_cndmask_b32_e64 v1, 0, 1, s[0:1]
	v_add_u32_e32 v3, v3, v1
; %bb.1963:
	s_or_b64 exec, exec, s[4:5]
	s_mov_b64 s[0:1], 0
	s_mov_b64 s[4:5], -1
	global_store_byte v[4:5], v3, off
.LBB22_1964:
	s_mov_b64 s[10:11], 0
.LBB22_1965:
	s_and_b64 vcc, exec, s[10:11]
	s_cbranch_vccz .LBB22_1968
; %bb.1966:
	s_cmp_eq_u32 s15, 29
	s_mov_b64 s[0:1], -1
	s_cbranch_scc0 .LBB22_1968
; %bb.1967:
	v_trunc_f32_e32 v1, v10
	v_mul_f32_e32 v3, 0x2f800000, v1
	v_floor_f32_e32 v3, v3
	v_fmamk_f32 v1, v3, 0xcf800000, v1
	v_cvt_u32_f32_e32 v7, v3
	v_cvt_u32_f32_e32 v6, v1
	s_mov_b64 s[0:1], 0
	s_mov_b64 s[4:5], -1
	global_store_dwordx2 v[4:5], v[6:7], off
.LBB22_1968:
	s_mov_b64 s[10:11], 0
.LBB22_1969:
	s_and_b64 vcc, exec, s[10:11]
	s_cbranch_vccz .LBB22_1985
; %bb.1970:
	s_cmp_lt_i32 s15, 27
	s_mov_b64 s[4:5], -1
	s_cbranch_scc1 .LBB22_1976
; %bb.1971:
	s_cmp_gt_i32 s15, 27
	s_cbranch_scc0 .LBB22_1973
; %bb.1972:
	v_cvt_u32_f32_e32 v1, v10
	s_mov_b64 s[4:5], 0
	global_store_dword v[4:5], v1, off
.LBB22_1973:
	s_andn2_b64 vcc, exec, s[4:5]
	s_cbranch_vccnz .LBB22_1975
; %bb.1974:
	v_cvt_u32_f32_e32 v1, v10
	global_store_short v[4:5], v1, off
.LBB22_1975:
	s_mov_b64 s[4:5], 0
.LBB22_1976:
	s_andn2_b64 vcc, exec, s[4:5]
	s_cbranch_vccnz .LBB22_1984
; %bb.1977:
	v_and_b32_e32 v1, 0x7fffffff, v10
	s_mov_b32 s4, 0x43800000
	v_cmp_gt_u32_e32 vcc, s4, v1
	v_mov_b32_e32 v3, 0x80
	s_and_saveexec_b64 s[4:5], vcc
	s_cbranch_execz .LBB22_1983
; %bb.1978:
	s_mov_b32 s10, 0x3bffffff
	v_cmp_lt_u32_e32 vcc, s10, v1
	s_mov_b64 s[10:11], 0
                                        ; implicit-def: $vgpr1
	s_and_saveexec_b64 s[12:13], vcc
	s_xor_b64 s[12:13], exec, s[12:13]
	s_cbranch_execz .LBB22_2274
; %bb.1979:
	v_bfe_u32 v1, v10, 20, 1
	s_mov_b32 s16, 0x487ffff
	v_add3_u32 v1, v10, v1, s16
	s_mov_b64 s[10:11], exec
	v_lshrrev_b32_e32 v1, 20, v1
	s_andn2_saveexec_b64 s[12:13], s[12:13]
	s_cbranch_execnz .LBB22_2275
.LBB22_1980:
	s_or_b64 exec, exec, s[12:13]
	v_mov_b32_e32 v3, 0
	s_and_saveexec_b64 s[12:13], s[10:11]
.LBB22_1981:
	v_lshrrev_b32_e32 v3, 24, v10
	s_movk_i32 s10, 0x80
	v_and_or_b32 v3, v3, s10, v1
.LBB22_1982:
	s_or_b64 exec, exec, s[12:13]
.LBB22_1983:
	s_or_b64 exec, exec, s[4:5]
	global_store_byte v[4:5], v3, off
.LBB22_1984:
	s_mov_b64 s[4:5], -1
.LBB22_1985:
	s_mov_b64 s[10:11], 0
.LBB22_1986:
	s_and_b64 vcc, exec, s[10:11]
	s_cbranch_vccz .LBB22_2026
; %bb.1987:
	s_cmp_gt_i32 s15, 22
	s_mov_b64 s[2:3], -1
	s_cbranch_scc0 .LBB22_2019
; %bb.1988:
	s_cmp_lt_i32 s15, 24
	s_cbranch_scc1 .LBB22_2008
; %bb.1989:
	s_cmp_gt_i32 s15, 24
	s_cbranch_scc0 .LBB22_1997
; %bb.1990:
	v_and_b32_e32 v1, 0x7fffffff, v10
	s_mov_b32 s2, 0x47800000
	v_cmp_gt_u32_e32 vcc, s2, v1
	v_mov_b32_e32 v3, 0x80
	s_and_saveexec_b64 s[2:3], vcc
	s_cbranch_execz .LBB22_1996
; %bb.1991:
	s_mov_b32 s4, 0x37ffffff
	v_cmp_lt_u32_e32 vcc, s4, v1
	s_mov_b64 s[4:5], 0
                                        ; implicit-def: $vgpr1
	s_and_saveexec_b64 s[10:11], vcc
	s_xor_b64 s[10:11], exec, s[10:11]
	s_cbranch_execz .LBB22_2277
; %bb.1992:
	v_bfe_u32 v1, v10, 21, 1
	s_mov_b32 s12, 0x88fffff
	v_add3_u32 v1, v10, v1, s12
	s_mov_b64 s[4:5], exec
	v_lshrrev_b32_e32 v1, 21, v1
	s_andn2_saveexec_b64 s[10:11], s[10:11]
	s_cbranch_execnz .LBB22_2278
.LBB22_1993:
	s_or_b64 exec, exec, s[10:11]
	v_mov_b32_e32 v3, 0
	s_and_saveexec_b64 s[10:11], s[4:5]
.LBB22_1994:
	v_lshrrev_b32_e32 v3, 24, v10
	s_movk_i32 s4, 0x80
	v_and_or_b32 v3, v3, s4, v1
.LBB22_1995:
	s_or_b64 exec, exec, s[10:11]
.LBB22_1996:
	s_or_b64 exec, exec, s[2:3]
	s_mov_b64 s[2:3], 0
	global_store_byte v[4:5], v3, off
.LBB22_1997:
	s_and_b64 vcc, exec, s[2:3]
	s_cbranch_vccz .LBB22_2007
; %bb.1998:
	v_and_b32_e32 v3, 0x7fffffff, v10
	s_mov_b32 s2, 0x43f00000
	v_cmp_gt_u32_e32 vcc, s2, v3
                                        ; implicit-def: $vgpr1
	s_and_saveexec_b64 s[2:3], vcc
	s_xor_b64 s[2:3], exec, s[2:3]
	s_cbranch_execz .LBB22_2004
; %bb.1999:
	s_mov_b32 s4, 0x3c7fffff
	v_cmp_lt_u32_e32 vcc, s4, v3
                                        ; implicit-def: $vgpr1
	s_and_saveexec_b64 s[4:5], vcc
	s_xor_b64 s[4:5], exec, s[4:5]
; %bb.2000:
	v_bfe_u32 v1, v10, 20, 1
	s_mov_b32 s10, 0x407ffff
	v_add3_u32 v1, v10, v1, s10
	v_lshrrev_b32_e32 v3, 20, v1
	v_and_b32_e32 v1, 0xff00000, v1
	s_mov_b32 s10, 0x7f00000
	v_mov_b32_e32 v6, 0x7e
	v_cmp_ne_u32_e32 vcc, s10, v1
	s_nop 1
	v_cndmask_b32_e32 v1, v6, v3, vcc
; %bb.2001:
	s_andn2_saveexec_b64 s[4:5], s[4:5]
; %bb.2002:
	s_mov_b32 s10, 0x46800000
	v_add_f32_e64 v1, |v10|, s10
; %bb.2003:
	s_or_b64 exec, exec, s[4:5]
                                        ; implicit-def: $vgpr3
.LBB22_2004:
	s_andn2_saveexec_b64 s[2:3], s[2:3]
; %bb.2005:
	s_mov_b32 s4, 0x7f800000
	v_mov_b32_e32 v1, 0x7e
	v_mov_b32_e32 v6, 0x7f
	v_cmp_lt_u32_e32 vcc, s4, v3
	s_nop 1
	v_cndmask_b32_e32 v1, v1, v6, vcc
; %bb.2006:
	s_or_b64 exec, exec, s[2:3]
	v_lshrrev_b32_e32 v3, 24, v10
	s_movk_i32 s2, 0x80
	v_and_or_b32 v1, v3, s2, v1
	global_store_byte v[4:5], v1, off
.LBB22_2007:
	s_mov_b64 s[2:3], 0
.LBB22_2008:
	s_andn2_b64 vcc, exec, s[2:3]
	s_cbranch_vccnz .LBB22_2018
; %bb.2009:
	v_and_b32_e32 v3, 0x7fffffff, v10
	s_mov_b32 s2, 0x47800000
	v_cmp_gt_u32_e32 vcc, s2, v3
                                        ; implicit-def: $vgpr1
	s_and_saveexec_b64 s[2:3], vcc
	s_xor_b64 s[2:3], exec, s[2:3]
	s_cbranch_execz .LBB22_2015
; %bb.2010:
	s_mov_b32 s4, 0x387fffff
	v_cmp_lt_u32_e32 vcc, s4, v3
                                        ; implicit-def: $vgpr1
	s_and_saveexec_b64 s[4:5], vcc
	s_xor_b64 s[4:5], exec, s[4:5]
; %bb.2011:
	v_bfe_u32 v1, v10, 21, 1
	s_mov_b32 s10, 0x80fffff
	v_add3_u32 v1, v10, v1, s10
	v_lshrrev_b32_e32 v1, 21, v1
; %bb.2012:
	s_andn2_saveexec_b64 s[4:5], s[4:5]
; %bb.2013:
	s_mov_b32 s10, 0x43000000
	v_add_f32_e64 v1, |v10|, s10
; %bb.2014:
	s_or_b64 exec, exec, s[4:5]
                                        ; implicit-def: $vgpr3
.LBB22_2015:
	s_andn2_saveexec_b64 s[2:3], s[2:3]
; %bb.2016:
	s_mov_b32 s4, 0x7f800000
	v_mov_b32_e32 v1, 0x7c
	v_mov_b32_e32 v6, 0x7f
	v_cmp_lt_u32_e32 vcc, s4, v3
	s_nop 1
	v_cndmask_b32_e32 v1, v1, v6, vcc
; %bb.2017:
	s_or_b64 exec, exec, s[2:3]
	v_lshrrev_b32_e32 v3, 24, v10
	s_movk_i32 s2, 0x80
	v_and_or_b32 v1, v3, s2, v1
	global_store_byte v[4:5], v1, off
.LBB22_2018:
	s_mov_b64 s[2:3], 0
	s_mov_b64 s[4:5], -1
.LBB22_2019:
	s_andn2_b64 vcc, exec, s[2:3]
	s_mov_b64 s[2:3], 0
	s_cbranch_vccnz .LBB22_2026
; %bb.2020:
	s_cmp_gt_i32 s15, 14
	s_mov_b64 s[10:11], -1
	s_cbranch_scc0 .LBB22_2024
; %bb.2021:
	s_cmp_eq_u32 s15, 15
	s_mov_b64 s[0:1], -1
	s_cbranch_scc0 .LBB22_2023
; %bb.2022:
	v_bfe_u32 v1, v10, 16, 1
	s_movk_i32 s0, 0x7fff
	v_add3_u32 v1, v10, v1, s0
	v_cmp_o_f32_e32 vcc, v10, v10
	v_mov_b32_e32 v3, 0x7fc0
	s_mov_b64 s[0:1], 0
	v_cndmask_b32_sdwa v1, v3, v1, vcc dst_sel:DWORD dst_unused:UNUSED_PAD src0_sel:DWORD src1_sel:WORD_1
	global_store_short v[4:5], v1, off
	s_mov_b64 s[4:5], -1
.LBB22_2023:
	s_mov_b64 s[10:11], 0
.LBB22_2024:
	s_and_b64 vcc, exec, s[10:11]
	s_cbranch_vccz .LBB22_2026
; %bb.2025:
	s_cmp_lg_u32 s15, 11
	s_mov_b64 s[2:3], -1
	s_cselect_b64 s[0:1], -1, 0
.LBB22_2026:
	s_and_b64 vcc, exec, s[0:1]
	s_cbranch_vccnz .LBB22_2276
; %bb.2027:
	s_andn2_b64 vcc, exec, s[2:3]
	s_cbranch_vccnz .LBB22_2029
.LBB22_2028:
	v_cmp_neq_f32_e32 vcc, 0, v10
	s_mov_b64 s[4:5], -1
	s_nop 0
	v_cndmask_b32_e64 v1, 0, 1, vcc
	global_store_byte v[4:5], v1, off
.LBB22_2029:
	s_mov_b64 s[0:1], 0
	s_branch .LBB22_2031
.LBB22_2030:
	s_mov_b64 s[0:1], -1
	s_mov_b64 s[4:5], 0
.LBB22_2031:
	s_and_b64 vcc, exec, s[0:1]
	s_cbranch_vccz .LBB22_2070
; %bb.2032:
	s_and_b32 s2, 0xffff, s14
	s_cmp_lt_i32 s2, 5
	s_mov_b64 s[0:1], -1
	s_cbranch_scc1 .LBB22_2053
; %bb.2033:
	s_cmp_lt_i32 s2, 8
	s_cbranch_scc1 .LBB22_2043
; %bb.2034:
	s_cmp_lt_i32 s2, 9
	s_cbranch_scc1 .LBB22_2040
; %bb.2035:
	s_cmp_gt_i32 s2, 9
	s_cbranch_scc0 .LBB22_2037
; %bb.2036:
	v_mov_b32_e32 v8, 0
	v_cvt_f64_f32_e32 v[6:7], v10
	v_mov_b32_e32 v9, v8
	global_store_dwordx4 v[4:5], v[6:9], off
	s_mov_b64 s[0:1], 0
.LBB22_2037:
	s_andn2_b64 vcc, exec, s[0:1]
	s_cbranch_vccnz .LBB22_2039
; %bb.2038:
	v_mov_b32_e32 v11, 0
	global_store_dwordx2 v[4:5], v[10:11], off
.LBB22_2039:
	s_mov_b64 s[0:1], 0
.LBB22_2040:
	s_andn2_b64 vcc, exec, s[0:1]
	s_cbranch_vccnz .LBB22_2042
; %bb.2041:
	v_cvt_f16_f32_e32 v1, v10
	global_store_dword v[4:5], v1, off
.LBB22_2042:
	s_mov_b64 s[0:1], 0
.LBB22_2043:
	s_andn2_b64 vcc, exec, s[0:1]
	s_cbranch_vccnz .LBB22_2052
; %bb.2044:
	s_cmp_lt_i32 s2, 6
	s_mov_b64 s[0:1], -1
	s_cbranch_scc1 .LBB22_2050
; %bb.2045:
	s_cmp_gt_i32 s2, 6
	s_cbranch_scc0 .LBB22_2047
; %bb.2046:
	v_cvt_f64_f32_e32 v[6:7], v10
	global_store_dwordx2 v[4:5], v[6:7], off
	s_mov_b64 s[0:1], 0
.LBB22_2047:
	s_andn2_b64 vcc, exec, s[0:1]
	s_cbranch_vccnz .LBB22_2049
; %bb.2048:
	global_store_dword v[4:5], v10, off
.LBB22_2049:
	s_mov_b64 s[0:1], 0
.LBB22_2050:
	s_andn2_b64 vcc, exec, s[0:1]
	s_cbranch_vccnz .LBB22_2052
; %bb.2051:
	v_cvt_f16_f32_e32 v1, v10
	global_store_short v[4:5], v1, off
.LBB22_2052:
	s_mov_b64 s[0:1], 0
.LBB22_2053:
	s_andn2_b64 vcc, exec, s[0:1]
	s_cbranch_vccnz .LBB22_2069
; %bb.2054:
	s_cmp_lt_i32 s2, 2
	s_mov_b64 s[0:1], -1
	s_cbranch_scc1 .LBB22_2064
; %bb.2055:
	s_cmp_lt_i32 s2, 3
	s_cbranch_scc1 .LBB22_2061
; %bb.2056:
	s_cmp_gt_i32 s2, 3
	s_cbranch_scc0 .LBB22_2058
; %bb.2057:
	v_trunc_f32_e32 v1, v10
	s_mov_b32 s0, 0x2f800000
	v_mul_f32_e64 v3, |v1|, s0
	v_floor_f32_e32 v3, v3
	s_mov_b32 s0, 0xcf800000
	v_cvt_u32_f32_e32 v6, v3
	v_fma_f32 v3, v3, s0, |v1|
	v_cvt_u32_f32_e32 v3, v3
	v_ashrrev_i32_e32 v1, 31, v1
	v_xor_b32_e32 v7, v6, v1
	s_mov_b64 s[0:1], 0
	v_xor_b32_e32 v3, v3, v1
	v_sub_co_u32_e32 v6, vcc, v3, v1
	s_nop 1
	v_subb_co_u32_e32 v7, vcc, v7, v1, vcc
	global_store_dwordx2 v[4:5], v[6:7], off
.LBB22_2058:
	s_andn2_b64 vcc, exec, s[0:1]
	s_cbranch_vccnz .LBB22_2060
; %bb.2059:
	v_cvt_i32_f32_e32 v1, v10
	global_store_dword v[4:5], v1, off
.LBB22_2060:
	s_mov_b64 s[0:1], 0
.LBB22_2061:
	s_andn2_b64 vcc, exec, s[0:1]
	s_cbranch_vccnz .LBB22_2063
; %bb.2062:
	v_cvt_i32_f32_e32 v1, v10
	global_store_short v[4:5], v1, off
.LBB22_2063:
	s_mov_b64 s[0:1], 0
.LBB22_2064:
	s_andn2_b64 vcc, exec, s[0:1]
	s_cbranch_vccnz .LBB22_2069
; %bb.2065:
	s_cmp_gt_i32 s2, 0
	s_mov_b64 s[0:1], -1
	s_cbranch_scc0 .LBB22_2067
; %bb.2066:
	v_cvt_i32_f32_e32 v1, v10
	s_mov_b64 s[0:1], 0
	global_store_byte v[4:5], v1, off
.LBB22_2067:
	s_andn2_b64 vcc, exec, s[0:1]
	s_cbranch_vccnz .LBB22_2069
; %bb.2068:
	v_trunc_f32_e32 v1, v10
	s_mov_b32 s0, 0x2f800000
	v_mul_f32_e64 v3, |v1|, s0
	v_floor_f32_e32 v3, v3
	s_mov_b32 s0, 0xcf800000
	v_fma_f32 v3, v3, s0, |v1|
	v_cvt_u32_f32_e32 v3, v3
	v_ashrrev_i32_e32 v1, 31, v1
	v_xor_b32_e32 v3, v3, v1
	v_sub_u32_e32 v1, v3, v1
	global_store_byte v[4:5], v1, off
.LBB22_2069:
	s_mov_b64 s[4:5], -1
.LBB22_2070:
	s_andn2_b64 vcc, exec, s[4:5]
	s_cbranch_vccnz .LBB22_2266
; %bb.2071:
	v_mov_b32_e32 v3, 0
	s_cmp_lt_i32 s14, 11
	v_lshl_add_u64 v[2:3], s[8:9], 0, v[2:3]
	s_cbranch_scc1 .LBB22_2149
; %bb.2072:
	s_and_b32 s15, 0xffff, s14
	s_mov_b64 s[10:11], -1
	s_mov_b64 s[2:3], 0
	s_cmp_gt_i32 s15, 25
	s_mov_b64 s[4:5], 0
	s_mov_b64 s[0:1], 0
	s_cbranch_scc0 .LBB22_2105
; %bb.2073:
	s_cmp_gt_i32 s15, 28
	s_cbranch_scc0 .LBB22_2088
; %bb.2074:
	s_cmp_gt_i32 s15, 43
	;; [unrolled: 3-line block ×3, first 2 shown]
	s_cbranch_scc0 .LBB22_2078
; %bb.2076:
	s_mov_b64 s[0:1], -1
	s_mov_b64 s[10:11], 0
	s_cmp_eq_u32 s15, 46
	s_cbranch_scc0 .LBB22_2078
; %bb.2077:
	v_bfe_u32 v1, v14, 16, 1
	s_movk_i32 s0, 0x7fff
	v_add3_u32 v1, v14, v1, s0
	v_cmp_o_f32_e32 vcc, v14, v14
	v_mov_b32_e32 v4, 0x7fc0
	s_mov_b64 s[0:1], 0
	v_cndmask_b32_sdwa v1, v4, v1, vcc dst_sel:DWORD dst_unused:UNUSED_PAD src0_sel:DWORD src1_sel:WORD_1
	global_store_dword v[2:3], v1, off
	s_mov_b64 s[4:5], -1
.LBB22_2078:
	s_and_b64 vcc, exec, s[10:11]
	s_cbranch_vccz .LBB22_2083
; %bb.2079:
	s_cmp_eq_u32 s15, 44
	s_mov_b64 s[0:1], -1
	s_cbranch_scc0 .LBB22_2083
; %bb.2080:
	v_bfe_u32 v1, v14, 23, 8
	s_movk_i32 s0, 0xff
	v_cmp_ne_u32_e32 vcc, s0, v1
	v_mov_b32_e32 v4, 0xff
	s_and_saveexec_b64 s[4:5], vcc
; %bb.2081:
	s_mov_b32 s0, 0x3fffff
	v_and_b32_e32 v5, 0x400000, v14
	v_and_or_b32 v1, v14, s0, v1
	v_cmp_ne_u32_e32 vcc, 0, v5
	v_cmp_ne_u32_e64 s[0:1], 0, v1
	s_and_b64 s[0:1], vcc, s[0:1]
	v_lshrrev_b32_e32 v4, 23, v14
	v_cndmask_b32_e64 v1, 0, 1, s[0:1]
	v_add_u32_e32 v4, v4, v1
; %bb.2082:
	s_or_b64 exec, exec, s[4:5]
	s_mov_b64 s[0:1], 0
	s_mov_b64 s[4:5], -1
	global_store_byte v[2:3], v4, off
.LBB22_2083:
	s_mov_b64 s[10:11], 0
.LBB22_2084:
	s_and_b64 vcc, exec, s[10:11]
	s_cbranch_vccz .LBB22_2087
; %bb.2085:
	s_cmp_eq_u32 s15, 29
	s_mov_b64 s[0:1], -1
	s_cbranch_scc0 .LBB22_2087
; %bb.2086:
	v_trunc_f32_e32 v1, v14
	v_mul_f32_e32 v4, 0x2f800000, v1
	v_floor_f32_e32 v4, v4
	v_fmamk_f32 v1, v4, 0xcf800000, v1
	v_cvt_u32_f32_e32 v5, v4
	v_cvt_u32_f32_e32 v4, v1
	s_mov_b64 s[0:1], 0
	s_mov_b64 s[4:5], -1
	global_store_dwordx2 v[2:3], v[4:5], off
.LBB22_2087:
	s_mov_b64 s[10:11], 0
.LBB22_2088:
	s_and_b64 vcc, exec, s[10:11]
	s_cbranch_vccz .LBB22_2104
; %bb.2089:
	s_cmp_lt_i32 s15, 27
	s_mov_b64 s[4:5], -1
	s_cbranch_scc1 .LBB22_2095
; %bb.2090:
	v_cvt_u32_f32_e32 v1, v14
	s_cmp_gt_i32 s15, 27
	s_cbranch_scc0 .LBB22_2092
; %bb.2091:
	s_mov_b64 s[4:5], 0
	global_store_dword v[2:3], v1, off
.LBB22_2092:
	s_andn2_b64 vcc, exec, s[4:5]
	s_cbranch_vccnz .LBB22_2094
; %bb.2093:
	global_store_short v[2:3], v1, off
.LBB22_2094:
	s_mov_b64 s[4:5], 0
.LBB22_2095:
	s_andn2_b64 vcc, exec, s[4:5]
	s_cbranch_vccnz .LBB22_2103
; %bb.2096:
	v_and_b32_e32 v1, 0x7fffffff, v14
	s_mov_b32 s4, 0x43800000
	v_cmp_gt_u32_e32 vcc, s4, v1
	v_mov_b32_e32 v4, 0x80
	s_and_saveexec_b64 s[4:5], vcc
	s_cbranch_execz .LBB22_2102
; %bb.2097:
	s_mov_b32 s10, 0x3bffffff
	v_cmp_lt_u32_e32 vcc, s10, v1
	s_mov_b64 s[10:11], 0
                                        ; implicit-def: $vgpr1
	s_and_saveexec_b64 s[12:13], vcc
	s_xor_b64 s[12:13], exec, s[12:13]
	s_cbranch_execz .LBB22_2279
; %bb.2098:
	v_bfe_u32 v1, v14, 20, 1
	s_mov_b32 s16, 0x487ffff
	v_add3_u32 v1, v14, v1, s16
	s_mov_b64 s[10:11], exec
	v_lshrrev_b32_e32 v1, 20, v1
	s_andn2_saveexec_b64 s[12:13], s[12:13]
	s_cbranch_execnz .LBB22_2280
.LBB22_2099:
	s_or_b64 exec, exec, s[12:13]
	v_mov_b32_e32 v4, 0
	s_and_saveexec_b64 s[12:13], s[10:11]
.LBB22_2100:
	v_lshrrev_b32_e32 v4, 24, v14
	s_movk_i32 s10, 0x80
	v_and_or_b32 v4, v4, s10, v1
.LBB22_2101:
	s_or_b64 exec, exec, s[12:13]
.LBB22_2102:
	s_or_b64 exec, exec, s[4:5]
	global_store_byte v[2:3], v4, off
.LBB22_2103:
	s_mov_b64 s[4:5], -1
.LBB22_2104:
	s_mov_b64 s[10:11], 0
.LBB22_2105:
	s_and_b64 vcc, exec, s[10:11]
	s_cbranch_vccz .LBB22_2145
; %bb.2106:
	s_cmp_gt_i32 s15, 22
	s_mov_b64 s[2:3], -1
	s_cbranch_scc0 .LBB22_2138
; %bb.2107:
	s_cmp_lt_i32 s15, 24
	s_cbranch_scc1 .LBB22_2127
; %bb.2108:
	s_cmp_gt_i32 s15, 24
	s_cbranch_scc0 .LBB22_2116
; %bb.2109:
	v_and_b32_e32 v1, 0x7fffffff, v14
	s_mov_b32 s2, 0x47800000
	v_cmp_gt_u32_e32 vcc, s2, v1
	v_mov_b32_e32 v4, 0x80
	s_and_saveexec_b64 s[2:3], vcc
	s_cbranch_execz .LBB22_2115
; %bb.2110:
	s_mov_b32 s4, 0x37ffffff
	v_cmp_lt_u32_e32 vcc, s4, v1
	s_mov_b64 s[4:5], 0
                                        ; implicit-def: $vgpr1
	s_and_saveexec_b64 s[10:11], vcc
	s_xor_b64 s[10:11], exec, s[10:11]
	s_cbranch_execz .LBB22_2282
; %bb.2111:
	v_bfe_u32 v1, v14, 21, 1
	s_mov_b32 s12, 0x88fffff
	v_add3_u32 v1, v14, v1, s12
	s_mov_b64 s[4:5], exec
	v_lshrrev_b32_e32 v1, 21, v1
	s_andn2_saveexec_b64 s[10:11], s[10:11]
	s_cbranch_execnz .LBB22_2283
.LBB22_2112:
	s_or_b64 exec, exec, s[10:11]
	v_mov_b32_e32 v4, 0
	s_and_saveexec_b64 s[10:11], s[4:5]
.LBB22_2113:
	v_lshrrev_b32_e32 v4, 24, v14
	s_movk_i32 s4, 0x80
	v_and_or_b32 v4, v4, s4, v1
.LBB22_2114:
	s_or_b64 exec, exec, s[10:11]
.LBB22_2115:
	s_or_b64 exec, exec, s[2:3]
	s_mov_b64 s[2:3], 0
	global_store_byte v[2:3], v4, off
.LBB22_2116:
	s_and_b64 vcc, exec, s[2:3]
	s_cbranch_vccz .LBB22_2126
; %bb.2117:
	v_and_b32_e32 v4, 0x7fffffff, v14
	s_mov_b32 s2, 0x43f00000
	v_cmp_gt_u32_e32 vcc, s2, v4
                                        ; implicit-def: $vgpr1
	s_and_saveexec_b64 s[2:3], vcc
	s_xor_b64 s[2:3], exec, s[2:3]
	s_cbranch_execz .LBB22_2123
; %bb.2118:
	s_mov_b32 s4, 0x3c7fffff
	v_cmp_lt_u32_e32 vcc, s4, v4
                                        ; implicit-def: $vgpr1
	s_and_saveexec_b64 s[4:5], vcc
	s_xor_b64 s[4:5], exec, s[4:5]
; %bb.2119:
	v_bfe_u32 v1, v14, 20, 1
	s_mov_b32 s10, 0x407ffff
	v_add3_u32 v1, v14, v1, s10
	v_lshrrev_b32_e32 v4, 20, v1
	v_and_b32_e32 v1, 0xff00000, v1
	s_mov_b32 s10, 0x7f00000
	v_mov_b32_e32 v5, 0x7e
	v_cmp_ne_u32_e32 vcc, s10, v1
	s_nop 1
	v_cndmask_b32_e32 v1, v5, v4, vcc
; %bb.2120:
	s_andn2_saveexec_b64 s[4:5], s[4:5]
; %bb.2121:
	s_mov_b32 s10, 0x46800000
	v_add_f32_e64 v1, |v14|, s10
; %bb.2122:
	s_or_b64 exec, exec, s[4:5]
                                        ; implicit-def: $vgpr4
.LBB22_2123:
	s_andn2_saveexec_b64 s[2:3], s[2:3]
; %bb.2124:
	s_mov_b32 s4, 0x7f800000
	v_mov_b32_e32 v1, 0x7e
	v_mov_b32_e32 v5, 0x7f
	v_cmp_lt_u32_e32 vcc, s4, v4
	s_nop 1
	v_cndmask_b32_e32 v1, v1, v5, vcc
; %bb.2125:
	s_or_b64 exec, exec, s[2:3]
	v_lshrrev_b32_e32 v4, 24, v14
	s_movk_i32 s2, 0x80
	v_and_or_b32 v1, v4, s2, v1
	global_store_byte v[2:3], v1, off
.LBB22_2126:
	s_mov_b64 s[2:3], 0
.LBB22_2127:
	s_andn2_b64 vcc, exec, s[2:3]
	s_cbranch_vccnz .LBB22_2137
; %bb.2128:
	v_and_b32_e32 v4, 0x7fffffff, v14
	s_mov_b32 s2, 0x47800000
	v_cmp_gt_u32_e32 vcc, s2, v4
                                        ; implicit-def: $vgpr1
	s_and_saveexec_b64 s[2:3], vcc
	s_xor_b64 s[2:3], exec, s[2:3]
	s_cbranch_execz .LBB22_2134
; %bb.2129:
	s_mov_b32 s4, 0x387fffff
	v_cmp_lt_u32_e32 vcc, s4, v4
                                        ; implicit-def: $vgpr1
	s_and_saveexec_b64 s[4:5], vcc
	s_xor_b64 s[4:5], exec, s[4:5]
; %bb.2130:
	v_bfe_u32 v1, v14, 21, 1
	s_mov_b32 s10, 0x80fffff
	v_add3_u32 v1, v14, v1, s10
	v_lshrrev_b32_e32 v1, 21, v1
; %bb.2131:
	s_andn2_saveexec_b64 s[4:5], s[4:5]
; %bb.2132:
	s_mov_b32 s10, 0x43000000
	v_add_f32_e64 v1, |v14|, s10
; %bb.2133:
	s_or_b64 exec, exec, s[4:5]
                                        ; implicit-def: $vgpr4
.LBB22_2134:
	s_andn2_saveexec_b64 s[2:3], s[2:3]
; %bb.2135:
	s_mov_b32 s4, 0x7f800000
	v_mov_b32_e32 v1, 0x7c
	v_mov_b32_e32 v5, 0x7f
	v_cmp_lt_u32_e32 vcc, s4, v4
	s_nop 1
	v_cndmask_b32_e32 v1, v1, v5, vcc
; %bb.2136:
	s_or_b64 exec, exec, s[2:3]
	v_lshrrev_b32_e32 v4, 24, v14
	s_movk_i32 s2, 0x80
	v_and_or_b32 v1, v4, s2, v1
	global_store_byte v[2:3], v1, off
.LBB22_2137:
	s_mov_b64 s[2:3], 0
	s_mov_b64 s[4:5], -1
.LBB22_2138:
	s_andn2_b64 vcc, exec, s[2:3]
	s_mov_b64 s[2:3], 0
	s_cbranch_vccnz .LBB22_2145
; %bb.2139:
	s_cmp_gt_i32 s15, 14
	s_mov_b64 s[10:11], -1
	s_cbranch_scc0 .LBB22_2143
; %bb.2140:
	s_cmp_eq_u32 s15, 15
	s_mov_b64 s[0:1], -1
	s_cbranch_scc0 .LBB22_2142
; %bb.2141:
	v_bfe_u32 v1, v14, 16, 1
	s_movk_i32 s0, 0x7fff
	v_add3_u32 v1, v14, v1, s0
	v_cmp_o_f32_e32 vcc, v14, v14
	v_mov_b32_e32 v4, 0x7fc0
	s_mov_b64 s[0:1], 0
	v_cndmask_b32_sdwa v1, v4, v1, vcc dst_sel:DWORD dst_unused:UNUSED_PAD src0_sel:DWORD src1_sel:WORD_1
	global_store_short v[2:3], v1, off
	s_mov_b64 s[4:5], -1
.LBB22_2142:
	s_mov_b64 s[10:11], 0
.LBB22_2143:
	s_and_b64 vcc, exec, s[10:11]
	s_cbranch_vccz .LBB22_2145
; %bb.2144:
	s_cmp_lg_u32 s15, 11
	s_mov_b64 s[2:3], -1
	s_cselect_b64 s[0:1], -1, 0
.LBB22_2145:
	s_and_b64 vcc, exec, s[0:1]
	s_cbranch_vccnz .LBB22_2281
; %bb.2146:
	s_andn2_b64 vcc, exec, s[2:3]
	s_cbranch_vccnz .LBB22_2148
.LBB22_2147:
	v_cmp_neq_f32_e32 vcc, 0, v14
	s_mov_b64 s[4:5], -1
	s_nop 0
	v_cndmask_b32_e64 v1, 0, 1, vcc
	global_store_byte v[2:3], v1, off
.LBB22_2148:
	s_mov_b64 s[0:1], 0
	s_branch .LBB22_2150
.LBB22_2149:
	s_mov_b64 s[0:1], -1
	s_mov_b64 s[4:5], 0
.LBB22_2150:
	s_and_b64 vcc, exec, s[0:1]
	s_cbranch_vccz .LBB22_2189
; %bb.2151:
	s_and_b32 s2, 0xffff, s14
	s_cmp_lt_i32 s2, 5
	s_mov_b64 s[0:1], -1
	s_cbranch_scc1 .LBB22_2172
; %bb.2152:
	s_cmp_lt_i32 s2, 8
	s_cbranch_scc1 .LBB22_2162
; %bb.2153:
	s_cmp_lt_i32 s2, 9
	s_cbranch_scc1 .LBB22_2159
; %bb.2154:
	s_cmp_gt_i32 s2, 9
	s_cbranch_scc0 .LBB22_2156
; %bb.2155:
	v_mov_b32_e32 v6, 0
	v_cvt_f64_f32_e32 v[4:5], v14
	v_mov_b32_e32 v7, v6
	global_store_dwordx4 v[2:3], v[4:7], off
	s_mov_b64 s[0:1], 0
.LBB22_2156:
	s_andn2_b64 vcc, exec, s[0:1]
	s_cbranch_vccnz .LBB22_2158
; %bb.2157:
	v_mov_b32_e32 v15, 0
	global_store_dwordx2 v[2:3], v[14:15], off
.LBB22_2158:
	s_mov_b64 s[0:1], 0
.LBB22_2159:
	s_andn2_b64 vcc, exec, s[0:1]
	s_cbranch_vccnz .LBB22_2161
; %bb.2160:
	v_cvt_f16_f32_e32 v1, v14
	global_store_dword v[2:3], v1, off
.LBB22_2161:
	s_mov_b64 s[0:1], 0
.LBB22_2162:
	s_andn2_b64 vcc, exec, s[0:1]
	s_cbranch_vccnz .LBB22_2171
; %bb.2163:
	s_cmp_lt_i32 s2, 6
	s_mov_b64 s[0:1], -1
	s_cbranch_scc1 .LBB22_2169
; %bb.2164:
	s_cmp_gt_i32 s2, 6
	s_cbranch_scc0 .LBB22_2166
; %bb.2165:
	v_cvt_f64_f32_e32 v[4:5], v14
	global_store_dwordx2 v[2:3], v[4:5], off
	s_mov_b64 s[0:1], 0
.LBB22_2166:
	s_andn2_b64 vcc, exec, s[0:1]
	s_cbranch_vccnz .LBB22_2168
; %bb.2167:
	global_store_dword v[2:3], v14, off
.LBB22_2168:
	s_mov_b64 s[0:1], 0
.LBB22_2169:
	s_andn2_b64 vcc, exec, s[0:1]
	s_cbranch_vccnz .LBB22_2171
; %bb.2170:
	v_cvt_f16_f32_e32 v1, v14
	global_store_short v[2:3], v1, off
.LBB22_2171:
	s_mov_b64 s[0:1], 0
.LBB22_2172:
	s_andn2_b64 vcc, exec, s[0:1]
	s_cbranch_vccnz .LBB22_2188
; %bb.2173:
	s_cmp_lt_i32 s2, 2
	s_mov_b64 s[0:1], -1
	s_cbranch_scc1 .LBB22_2183
; %bb.2174:
	s_cmp_lt_i32 s2, 3
	s_cbranch_scc1 .LBB22_2180
; %bb.2175:
	s_cmp_gt_i32 s2, 3
	s_cbranch_scc0 .LBB22_2177
; %bb.2176:
	v_trunc_f32_e32 v1, v14
	s_mov_b32 s0, 0x2f800000
	v_mul_f32_e64 v4, |v1|, s0
	v_floor_f32_e32 v4, v4
	s_mov_b32 s0, 0xcf800000
	v_cvt_u32_f32_e32 v5, v4
	v_fma_f32 v4, v4, s0, |v1|
	v_cvt_u32_f32_e32 v4, v4
	v_ashrrev_i32_e32 v1, 31, v1
	v_xor_b32_e32 v5, v5, v1
	s_mov_b64 s[0:1], 0
	v_xor_b32_e32 v4, v4, v1
	v_sub_co_u32_e32 v4, vcc, v4, v1
	s_nop 1
	v_subb_co_u32_e32 v5, vcc, v5, v1, vcc
	global_store_dwordx2 v[2:3], v[4:5], off
.LBB22_2177:
	s_andn2_b64 vcc, exec, s[0:1]
	s_cbranch_vccnz .LBB22_2179
; %bb.2178:
	v_cvt_i32_f32_e32 v1, v14
	global_store_dword v[2:3], v1, off
.LBB22_2179:
	s_mov_b64 s[0:1], 0
.LBB22_2180:
	s_andn2_b64 vcc, exec, s[0:1]
	s_cbranch_vccnz .LBB22_2182
; %bb.2181:
	v_cvt_i32_f32_e32 v1, v14
	global_store_short v[2:3], v1, off
.LBB22_2182:
	s_mov_b64 s[0:1], 0
.LBB22_2183:
	s_andn2_b64 vcc, exec, s[0:1]
	s_cbranch_vccnz .LBB22_2188
; %bb.2184:
	s_cmp_gt_i32 s2, 0
	s_mov_b64 s[0:1], -1
	s_cbranch_scc0 .LBB22_2186
; %bb.2185:
	v_cvt_i32_f32_e32 v1, v14
	s_mov_b64 s[0:1], 0
	global_store_byte v[2:3], v1, off
.LBB22_2186:
	s_andn2_b64 vcc, exec, s[0:1]
	s_cbranch_vccnz .LBB22_2188
; %bb.2187:
	v_trunc_f32_e32 v1, v14
	s_mov_b32 s0, 0x2f800000
	v_mul_f32_e64 v4, |v1|, s0
	v_floor_f32_e32 v4, v4
	s_mov_b32 s0, 0xcf800000
	v_fma_f32 v4, v4, s0, |v1|
	v_cvt_u32_f32_e32 v4, v4
	v_ashrrev_i32_e32 v1, 31, v1
	v_xor_b32_e32 v4, v4, v1
	v_sub_u32_e32 v1, v4, v1
	global_store_byte v[2:3], v1, off
.LBB22_2188:
	s_mov_b64 s[4:5], -1
.LBB22_2189:
	s_andn2_b64 vcc, exec, s[4:5]
	s_cbranch_vccnz .LBB22_2266
; %bb.2190:
	v_mov_b32_e32 v1, 0
	s_cmp_lt_i32 s14, 11
	v_lshl_add_u64 v[0:1], s[8:9], 0, v[0:1]
	s_cbranch_scc1 .LBB22_2267
; %bb.2191:
	s_and_b32 s12, 0xffff, s14
	s_mov_b64 s[4:5], -1
	s_mov_b64 s[2:3], 0
	s_cmp_gt_i32 s12, 25
	s_mov_b64 s[0:1], 0
	s_cbranch_scc0 .LBB22_2224
; %bb.2192:
	s_cmp_gt_i32 s12, 28
	s_cbranch_scc0 .LBB22_2208
; %bb.2193:
	s_cmp_gt_i32 s12, 43
	;; [unrolled: 3-line block ×3, first 2 shown]
	s_cbranch_scc0 .LBB22_2198
; %bb.2195:
	s_cmp_eq_u32 s12, 46
	s_mov_b64 s[0:1], -1
	s_cbranch_scc0 .LBB22_2197
; %bb.2196:
	v_bfe_u32 v2, v12, 16, 1
	s_movk_i32 s0, 0x7fff
	v_add3_u32 v2, v12, v2, s0
	v_cmp_o_f32_e32 vcc, v12, v12
	v_mov_b32_e32 v3, 0x7fc0
	s_mov_b64 s[0:1], 0
	v_cndmask_b32_sdwa v2, v3, v2, vcc dst_sel:DWORD dst_unused:UNUSED_PAD src0_sel:DWORD src1_sel:WORD_1
	global_store_dword v[0:1], v2, off
.LBB22_2197:
	s_mov_b64 s[4:5], 0
.LBB22_2198:
	s_and_b64 vcc, exec, s[4:5]
	s_cbranch_vccz .LBB22_2203
; %bb.2199:
	s_cmp_eq_u32 s12, 44
	s_mov_b64 s[0:1], -1
	s_cbranch_scc0 .LBB22_2203
; %bb.2200:
	v_bfe_u32 v2, v12, 23, 8
	s_movk_i32 s0, 0xff
	v_cmp_ne_u32_e32 vcc, s0, v2
	v_mov_b32_e32 v3, 0xff
	s_and_saveexec_b64 s[4:5], vcc
; %bb.2201:
	s_mov_b32 s0, 0x3fffff
	v_and_b32_e32 v4, 0x400000, v12
	v_and_or_b32 v2, v12, s0, v2
	v_cmp_ne_u32_e32 vcc, 0, v4
	v_cmp_ne_u32_e64 s[0:1], 0, v2
	s_and_b64 s[0:1], vcc, s[0:1]
	v_lshrrev_b32_e32 v3, 23, v12
	v_cndmask_b32_e64 v2, 0, 1, s[0:1]
	v_add_u32_e32 v3, v3, v2
; %bb.2202:
	s_or_b64 exec, exec, s[4:5]
	s_mov_b64 s[0:1], 0
	global_store_byte v[0:1], v3, off
.LBB22_2203:
	s_mov_b64 s[4:5], 0
.LBB22_2204:
	s_and_b64 vcc, exec, s[4:5]
	s_cbranch_vccz .LBB22_2207
; %bb.2205:
	s_cmp_eq_u32 s12, 29
	s_mov_b64 s[0:1], -1
	s_cbranch_scc0 .LBB22_2207
; %bb.2206:
	v_trunc_f32_e32 v2, v12
	v_mul_f32_e32 v3, 0x2f800000, v2
	v_floor_f32_e32 v4, v3
	v_fmamk_f32 v2, v4, 0xcf800000, v2
	v_cvt_u32_f32_e32 v3, v4
	v_cvt_u32_f32_e32 v2, v2
	s_mov_b64 s[0:1], 0
	global_store_dwordx2 v[0:1], v[2:3], off
.LBB22_2207:
	s_mov_b64 s[4:5], 0
.LBB22_2208:
	s_and_b64 vcc, exec, s[4:5]
	s_cbranch_vccz .LBB22_2223
; %bb.2209:
	s_cmp_lt_i32 s12, 27
	s_mov_b64 s[4:5], -1
	s_cbranch_scc1 .LBB22_2215
; %bb.2210:
	s_cmp_gt_i32 s12, 27
	s_cbranch_scc0 .LBB22_2212
; %bb.2211:
	v_cvt_u32_f32_e32 v2, v12
	s_mov_b64 s[4:5], 0
	global_store_dword v[0:1], v2, off
.LBB22_2212:
	s_andn2_b64 vcc, exec, s[4:5]
	s_cbranch_vccnz .LBB22_2214
; %bb.2213:
	v_cvt_u32_f32_e32 v2, v12
	global_store_short v[0:1], v2, off
.LBB22_2214:
	s_mov_b64 s[4:5], 0
.LBB22_2215:
	s_andn2_b64 vcc, exec, s[4:5]
	s_cbranch_vccnz .LBB22_2223
; %bb.2216:
	v_and_b32_e32 v2, 0x7fffffff, v12
	s_mov_b32 s4, 0x43800000
	v_cmp_gt_u32_e32 vcc, s4, v2
	v_mov_b32_e32 v3, 0x80
	s_and_saveexec_b64 s[4:5], vcc
	s_cbranch_execz .LBB22_2222
; %bb.2217:
	s_mov_b32 s8, 0x3bffffff
	v_cmp_lt_u32_e32 vcc, s8, v2
	s_mov_b64 s[8:9], 0
                                        ; implicit-def: $vgpr2
	s_and_saveexec_b64 s[10:11], vcc
	s_xor_b64 s[10:11], exec, s[10:11]
	s_cbranch_execz .LBB22_2284
; %bb.2218:
	v_bfe_u32 v2, v12, 20, 1
	s_mov_b32 s13, 0x487ffff
	v_add3_u32 v2, v12, v2, s13
	s_mov_b64 s[8:9], exec
	v_lshrrev_b32_e32 v2, 20, v2
	s_andn2_saveexec_b64 s[10:11], s[10:11]
	s_cbranch_execnz .LBB22_2285
.LBB22_2219:
	s_or_b64 exec, exec, s[10:11]
	v_mov_b32_e32 v3, 0
	s_and_saveexec_b64 s[10:11], s[8:9]
.LBB22_2220:
	v_lshrrev_b32_e32 v3, 24, v12
	s_movk_i32 s8, 0x80
	v_and_or_b32 v3, v3, s8, v2
.LBB22_2221:
	s_or_b64 exec, exec, s[10:11]
.LBB22_2222:
	s_or_b64 exec, exec, s[4:5]
	global_store_byte v[0:1], v3, off
.LBB22_2223:
	s_mov_b64 s[4:5], 0
.LBB22_2224:
	s_and_b64 vcc, exec, s[4:5]
	s_cbranch_vccz .LBB22_2264
; %bb.2225:
	s_cmp_gt_i32 s12, 22
	s_mov_b64 s[2:3], -1
	s_cbranch_scc0 .LBB22_2257
; %bb.2226:
	s_cmp_lt_i32 s12, 24
	s_cbranch_scc1 .LBB22_2246
; %bb.2227:
	s_cmp_gt_i32 s12, 24
	s_cbranch_scc0 .LBB22_2235
; %bb.2228:
	v_and_b32_e32 v2, 0x7fffffff, v12
	s_mov_b32 s2, 0x47800000
	v_cmp_gt_u32_e32 vcc, s2, v2
	v_mov_b32_e32 v3, 0x80
	s_and_saveexec_b64 s[2:3], vcc
	s_cbranch_execz .LBB22_2234
; %bb.2229:
	s_mov_b32 s4, 0x37ffffff
	v_cmp_lt_u32_e32 vcc, s4, v2
	s_mov_b64 s[4:5], 0
                                        ; implicit-def: $vgpr2
	s_and_saveexec_b64 s[8:9], vcc
	s_xor_b64 s[8:9], exec, s[8:9]
	s_cbranch_execz .LBB22_2287
; %bb.2230:
	v_bfe_u32 v2, v12, 21, 1
	s_mov_b32 s10, 0x88fffff
	v_add3_u32 v2, v12, v2, s10
	s_mov_b64 s[4:5], exec
	v_lshrrev_b32_e32 v2, 21, v2
	s_andn2_saveexec_b64 s[8:9], s[8:9]
	s_cbranch_execnz .LBB22_2288
.LBB22_2231:
	s_or_b64 exec, exec, s[8:9]
	v_mov_b32_e32 v3, 0
	s_and_saveexec_b64 s[8:9], s[4:5]
.LBB22_2232:
	v_lshrrev_b32_e32 v3, 24, v12
	s_movk_i32 s4, 0x80
	v_and_or_b32 v3, v3, s4, v2
.LBB22_2233:
	s_or_b64 exec, exec, s[8:9]
.LBB22_2234:
	s_or_b64 exec, exec, s[2:3]
	s_mov_b64 s[2:3], 0
	global_store_byte v[0:1], v3, off
.LBB22_2235:
	s_and_b64 vcc, exec, s[2:3]
	s_cbranch_vccz .LBB22_2245
; %bb.2236:
	v_and_b32_e32 v3, 0x7fffffff, v12
	s_mov_b32 s2, 0x43f00000
	v_cmp_gt_u32_e32 vcc, s2, v3
                                        ; implicit-def: $vgpr2
	s_and_saveexec_b64 s[2:3], vcc
	s_xor_b64 s[2:3], exec, s[2:3]
	s_cbranch_execz .LBB22_2242
; %bb.2237:
	s_mov_b32 s4, 0x3c7fffff
	v_cmp_lt_u32_e32 vcc, s4, v3
                                        ; implicit-def: $vgpr2
	s_and_saveexec_b64 s[4:5], vcc
	s_xor_b64 s[4:5], exec, s[4:5]
; %bb.2238:
	v_bfe_u32 v2, v12, 20, 1
	s_mov_b32 s8, 0x407ffff
	v_add3_u32 v2, v12, v2, s8
	v_lshrrev_b32_e32 v3, 20, v2
	v_and_b32_e32 v2, 0xff00000, v2
	s_mov_b32 s8, 0x7f00000
	v_mov_b32_e32 v4, 0x7e
	v_cmp_ne_u32_e32 vcc, s8, v2
	s_nop 1
	v_cndmask_b32_e32 v2, v4, v3, vcc
; %bb.2239:
	s_andn2_saveexec_b64 s[4:5], s[4:5]
; %bb.2240:
	s_mov_b32 s8, 0x46800000
	v_add_f32_e64 v2, |v12|, s8
; %bb.2241:
	s_or_b64 exec, exec, s[4:5]
                                        ; implicit-def: $vgpr3
.LBB22_2242:
	s_andn2_saveexec_b64 s[2:3], s[2:3]
; %bb.2243:
	s_mov_b32 s4, 0x7f800000
	v_mov_b32_e32 v2, 0x7e
	v_mov_b32_e32 v4, 0x7f
	v_cmp_lt_u32_e32 vcc, s4, v3
	s_nop 1
	v_cndmask_b32_e32 v2, v2, v4, vcc
; %bb.2244:
	s_or_b64 exec, exec, s[2:3]
	v_lshrrev_b32_e32 v3, 24, v12
	s_movk_i32 s2, 0x80
	v_and_or_b32 v2, v3, s2, v2
	global_store_byte v[0:1], v2, off
.LBB22_2245:
	s_mov_b64 s[2:3], 0
.LBB22_2246:
	s_andn2_b64 vcc, exec, s[2:3]
	s_cbranch_vccnz .LBB22_2256
; %bb.2247:
	v_and_b32_e32 v3, 0x7fffffff, v12
	s_mov_b32 s2, 0x47800000
	v_cmp_gt_u32_e32 vcc, s2, v3
                                        ; implicit-def: $vgpr2
	s_and_saveexec_b64 s[2:3], vcc
	s_xor_b64 s[2:3], exec, s[2:3]
	s_cbranch_execz .LBB22_2253
; %bb.2248:
	s_mov_b32 s4, 0x387fffff
	v_cmp_lt_u32_e32 vcc, s4, v3
                                        ; implicit-def: $vgpr2
	s_and_saveexec_b64 s[4:5], vcc
	s_xor_b64 s[4:5], exec, s[4:5]
; %bb.2249:
	v_bfe_u32 v2, v12, 21, 1
	s_mov_b32 s8, 0x80fffff
	v_add3_u32 v2, v12, v2, s8
	v_lshrrev_b32_e32 v2, 21, v2
; %bb.2250:
	s_andn2_saveexec_b64 s[4:5], s[4:5]
; %bb.2251:
	s_mov_b32 s8, 0x43000000
	v_add_f32_e64 v2, |v12|, s8
; %bb.2252:
	s_or_b64 exec, exec, s[4:5]
                                        ; implicit-def: $vgpr3
.LBB22_2253:
	s_andn2_saveexec_b64 s[2:3], s[2:3]
; %bb.2254:
	s_mov_b32 s4, 0x7f800000
	v_mov_b32_e32 v2, 0x7c
	v_mov_b32_e32 v4, 0x7f
	v_cmp_lt_u32_e32 vcc, s4, v3
	s_nop 1
	v_cndmask_b32_e32 v2, v2, v4, vcc
; %bb.2255:
	s_or_b64 exec, exec, s[2:3]
	v_lshrrev_b32_e32 v3, 24, v12
	s_movk_i32 s2, 0x80
	v_and_or_b32 v2, v3, s2, v2
	global_store_byte v[0:1], v2, off
.LBB22_2256:
	s_mov_b64 s[2:3], 0
.LBB22_2257:
	s_andn2_b64 vcc, exec, s[2:3]
	s_mov_b64 s[2:3], 0
	s_cbranch_vccnz .LBB22_2264
; %bb.2258:
	s_cmp_gt_i32 s12, 14
	s_mov_b64 s[4:5], -1
	s_cbranch_scc0 .LBB22_2262
; %bb.2259:
	s_cmp_eq_u32 s12, 15
	s_mov_b64 s[0:1], -1
	s_cbranch_scc0 .LBB22_2261
; %bb.2260:
	v_bfe_u32 v2, v12, 16, 1
	s_movk_i32 s0, 0x7fff
	v_add3_u32 v2, v12, v2, s0
	v_cmp_o_f32_e32 vcc, v12, v12
	v_mov_b32_e32 v3, 0x7fc0
	s_mov_b64 s[0:1], 0
	v_cndmask_b32_sdwa v2, v3, v2, vcc dst_sel:DWORD dst_unused:UNUSED_PAD src0_sel:DWORD src1_sel:WORD_1
	global_store_short v[0:1], v2, off
.LBB22_2261:
	s_mov_b64 s[4:5], 0
.LBB22_2262:
	s_and_b64 vcc, exec, s[4:5]
	s_cbranch_vccz .LBB22_2264
; %bb.2263:
	s_cmp_lg_u32 s12, 11
	s_mov_b64 s[2:3], -1
	s_cselect_b64 s[0:1], -1, 0
.LBB22_2264:
	s_and_b64 vcc, exec, s[0:1]
	s_cbranch_vccnz .LBB22_2286
.LBB22_2265:
	s_mov_b64 s[0:1], 0
	s_branch .LBB22_1782
.LBB22_2266:
	s_mov_b64 s[0:1], 0
                                        ; implicit-def: $vgpr0_vgpr1
                                        ; implicit-def: $sgpr14
	s_branch .LBB22_1781
.LBB22_2267:
	s_mov_b64 s[2:3], 0
	s_mov_b64 s[0:1], -1
	s_branch .LBB22_1782
.LBB22_2268:
	s_trap 2
	s_or_b64 s[6:7], s[6:7], exec
	s_cbranch_execz .LBB22_1719
	s_branch .LBB22_1720
.LBB22_2269:
	s_andn2_saveexec_b64 s[12:13], s[12:13]
	s_cbranch_execz .LBB22_1861
.LBB22_2270:
	s_mov_b32 s16, 0x46000000
	v_add_f32_e64 v1, |v8|, s16
	v_and_b32_e32 v1, 0xff, v1
	v_cmp_ne_u32_e32 vcc, 0, v1
	s_andn2_b64 s[10:11], s[10:11], exec
	s_and_b64 s[16:17], vcc, exec
	s_or_b64 s[10:11], s[10:11], s[16:17]
	s_or_b64 exec, exec, s[12:13]
	v_mov_b32_e32 v3, 0
	s_and_saveexec_b64 s[12:13], s[10:11]
	s_cbranch_execnz .LBB22_1862
	s_branch .LBB22_1863
.LBB22_2271:
	s_trap 2
	s_or_b64 s[6:7], s[6:7], exec
	s_cbranch_execz .LBB22_1909
	s_branch .LBB22_1910
.LBB22_2272:
	s_andn2_saveexec_b64 s[10:11], s[10:11]
	s_cbranch_execz .LBB22_1874
.LBB22_2273:
	s_mov_b32 s12, 0x42800000
	v_add_f32_e64 v1, |v8|, s12
	v_and_b32_e32 v1, 0xff, v1
	v_cmp_ne_u32_e32 vcc, 0, v1
	s_andn2_b64 s[4:5], s[4:5], exec
	s_and_b64 s[12:13], vcc, exec
	s_or_b64 s[4:5], s[4:5], s[12:13]
	s_or_b64 exec, exec, s[10:11]
	v_mov_b32_e32 v3, 0
	s_and_saveexec_b64 s[10:11], s[4:5]
	s_cbranch_execnz .LBB22_1875
	s_branch .LBB22_1876
.LBB22_2274:
	s_andn2_saveexec_b64 s[12:13], s[12:13]
	s_cbranch_execz .LBB22_1980
.LBB22_2275:
	s_mov_b32 s16, 0x46000000
	v_add_f32_e64 v1, |v10|, s16
	v_and_b32_e32 v1, 0xff, v1
	v_cmp_ne_u32_e32 vcc, 0, v1
	s_andn2_b64 s[10:11], s[10:11], exec
	s_and_b64 s[16:17], vcc, exec
	s_or_b64 s[10:11], s[10:11], s[16:17]
	s_or_b64 exec, exec, s[12:13]
	v_mov_b32_e32 v3, 0
	s_and_saveexec_b64 s[12:13], s[10:11]
	s_cbranch_execnz .LBB22_1981
	s_branch .LBB22_1982
.LBB22_2276:
	s_trap 2
	s_or_b64 s[6:7], s[6:7], exec
	s_cbranch_execz .LBB22_2028
	s_branch .LBB22_2029
.LBB22_2277:
	s_andn2_saveexec_b64 s[10:11], s[10:11]
	s_cbranch_execz .LBB22_1993
.LBB22_2278:
	s_mov_b32 s12, 0x42800000
	v_add_f32_e64 v1, |v10|, s12
	v_and_b32_e32 v1, 0xff, v1
	v_cmp_ne_u32_e32 vcc, 0, v1
	s_andn2_b64 s[4:5], s[4:5], exec
	s_and_b64 s[12:13], vcc, exec
	s_or_b64 s[4:5], s[4:5], s[12:13]
	s_or_b64 exec, exec, s[10:11]
	v_mov_b32_e32 v3, 0
	s_and_saveexec_b64 s[10:11], s[4:5]
	s_cbranch_execnz .LBB22_1994
	s_branch .LBB22_1995
.LBB22_2279:
	s_andn2_saveexec_b64 s[12:13], s[12:13]
	s_cbranch_execz .LBB22_2099
.LBB22_2280:
	s_mov_b32 s16, 0x46000000
	v_add_f32_e64 v1, |v14|, s16
	v_and_b32_e32 v1, 0xff, v1
	v_cmp_ne_u32_e32 vcc, 0, v1
	s_andn2_b64 s[10:11], s[10:11], exec
	s_and_b64 s[16:17], vcc, exec
	s_or_b64 s[10:11], s[10:11], s[16:17]
	s_or_b64 exec, exec, s[12:13]
	v_mov_b32_e32 v4, 0
	s_and_saveexec_b64 s[12:13], s[10:11]
	s_cbranch_execnz .LBB22_2100
	s_branch .LBB22_2101
.LBB22_2281:
	s_trap 2
	s_or_b64 s[6:7], s[6:7], exec
	s_cbranch_execz .LBB22_2147
	s_branch .LBB22_2148
.LBB22_2282:
	s_andn2_saveexec_b64 s[10:11], s[10:11]
	s_cbranch_execz .LBB22_2112
.LBB22_2283:
	s_mov_b32 s12, 0x42800000
	v_add_f32_e64 v1, |v14|, s12
	v_and_b32_e32 v1, 0xff, v1
	v_cmp_ne_u32_e32 vcc, 0, v1
	s_andn2_b64 s[4:5], s[4:5], exec
	s_and_b64 s[12:13], vcc, exec
	s_or_b64 s[4:5], s[4:5], s[12:13]
	s_or_b64 exec, exec, s[10:11]
	v_mov_b32_e32 v4, 0
	s_and_saveexec_b64 s[10:11], s[4:5]
	s_cbranch_execnz .LBB22_2113
	s_branch .LBB22_2114
.LBB22_2284:
	s_andn2_saveexec_b64 s[10:11], s[10:11]
	s_cbranch_execz .LBB22_2219
.LBB22_2285:
	s_mov_b32 s13, 0x46000000
	v_add_f32_e64 v2, |v12|, s13
	v_and_b32_e32 v2, 0xff, v2
	v_cmp_ne_u32_e32 vcc, 0, v2
	s_andn2_b64 s[8:9], s[8:9], exec
	s_and_b64 s[16:17], vcc, exec
	s_or_b64 s[8:9], s[8:9], s[16:17]
	s_or_b64 exec, exec, s[10:11]
	v_mov_b32_e32 v3, 0
	s_and_saveexec_b64 s[10:11], s[8:9]
	s_cbranch_execnz .LBB22_2220
	s_branch .LBB22_2221
.LBB22_2286:
	s_mov_b64 s[2:3], 0
	s_or_b64 s[6:7], s[6:7], exec
	s_trap 2
	s_branch .LBB22_2265
.LBB22_2287:
	s_andn2_saveexec_b64 s[8:9], s[8:9]
	s_cbranch_execz .LBB22_2231
.LBB22_2288:
	s_mov_b32 s10, 0x42800000
	v_add_f32_e64 v2, |v12|, s10
	v_and_b32_e32 v2, 0xff, v2
	v_cmp_ne_u32_e32 vcc, 0, v2
	s_andn2_b64 s[4:5], s[4:5], exec
	s_and_b64 s[10:11], vcc, exec
	s_or_b64 s[4:5], s[4:5], s[10:11]
	s_or_b64 exec, exec, s[8:9]
	v_mov_b32_e32 v3, 0
	s_and_saveexec_b64 s[8:9], s[4:5]
	s_cbranch_execnz .LBB22_2232
	s_branch .LBB22_2233
	.section	.rodata,"a",@progbits
	.p2align	6, 0x0
	.amdhsa_kernel _ZN2at6native32elementwise_kernel_manual_unrollILi128ELi4EZNS0_15gpu_kernel_implIZZZNS0_12_GLOBAL__N_121bessel_y1_kernel_cudaERNS_18TensorIteratorBaseEENKUlvE_clEvENKUlvE0_clEvEUlfE_EEvS5_RKT_EUlibE0_EEviT1_
		.amdhsa_group_segment_fixed_size 0
		.amdhsa_private_segment_fixed_size 0
		.amdhsa_kernarg_size 360
		.amdhsa_user_sgpr_count 2
		.amdhsa_user_sgpr_dispatch_ptr 0
		.amdhsa_user_sgpr_queue_ptr 0
		.amdhsa_user_sgpr_kernarg_segment_ptr 1
		.amdhsa_user_sgpr_dispatch_id 0
		.amdhsa_user_sgpr_kernarg_preload_length 0
		.amdhsa_user_sgpr_kernarg_preload_offset 0
		.amdhsa_user_sgpr_private_segment_size 0
		.amdhsa_uses_dynamic_stack 0
		.amdhsa_enable_private_segment 0
		.amdhsa_system_sgpr_workgroup_id_x 1
		.amdhsa_system_sgpr_workgroup_id_y 0
		.amdhsa_system_sgpr_workgroup_id_z 0
		.amdhsa_system_sgpr_workgroup_info 0
		.amdhsa_system_vgpr_workitem_id 0
		.amdhsa_next_free_vgpr 30
		.amdhsa_next_free_sgpr 78
		.amdhsa_accum_offset 32
		.amdhsa_reserve_vcc 1
		.amdhsa_float_round_mode_32 0
		.amdhsa_float_round_mode_16_64 0
		.amdhsa_float_denorm_mode_32 3
		.amdhsa_float_denorm_mode_16_64 3
		.amdhsa_dx10_clamp 1
		.amdhsa_ieee_mode 1
		.amdhsa_fp16_overflow 0
		.amdhsa_tg_split 0
		.amdhsa_exception_fp_ieee_invalid_op 0
		.amdhsa_exception_fp_denorm_src 0
		.amdhsa_exception_fp_ieee_div_zero 0
		.amdhsa_exception_fp_ieee_overflow 0
		.amdhsa_exception_fp_ieee_underflow 0
		.amdhsa_exception_fp_ieee_inexact 0
		.amdhsa_exception_int_div_zero 0
	.end_amdhsa_kernel
	.section	.text._ZN2at6native32elementwise_kernel_manual_unrollILi128ELi4EZNS0_15gpu_kernel_implIZZZNS0_12_GLOBAL__N_121bessel_y1_kernel_cudaERNS_18TensorIteratorBaseEENKUlvE_clEvENKUlvE0_clEvEUlfE_EEvS5_RKT_EUlibE0_EEviT1_,"axG",@progbits,_ZN2at6native32elementwise_kernel_manual_unrollILi128ELi4EZNS0_15gpu_kernel_implIZZZNS0_12_GLOBAL__N_121bessel_y1_kernel_cudaERNS_18TensorIteratorBaseEENKUlvE_clEvENKUlvE0_clEvEUlfE_EEvS5_RKT_EUlibE0_EEviT1_,comdat
.Lfunc_end22:
	.size	_ZN2at6native32elementwise_kernel_manual_unrollILi128ELi4EZNS0_15gpu_kernel_implIZZZNS0_12_GLOBAL__N_121bessel_y1_kernel_cudaERNS_18TensorIteratorBaseEENKUlvE_clEvENKUlvE0_clEvEUlfE_EEvS5_RKT_EUlibE0_EEviT1_, .Lfunc_end22-_ZN2at6native32elementwise_kernel_manual_unrollILi128ELi4EZNS0_15gpu_kernel_implIZZZNS0_12_GLOBAL__N_121bessel_y1_kernel_cudaERNS_18TensorIteratorBaseEENKUlvE_clEvENKUlvE0_clEvEUlfE_EEvS5_RKT_EUlibE0_EEviT1_
                                        ; -- End function
	.set _ZN2at6native32elementwise_kernel_manual_unrollILi128ELi4EZNS0_15gpu_kernel_implIZZZNS0_12_GLOBAL__N_121bessel_y1_kernel_cudaERNS_18TensorIteratorBaseEENKUlvE_clEvENKUlvE0_clEvEUlfE_EEvS5_RKT_EUlibE0_EEviT1_.num_vgpr, 30
	.set _ZN2at6native32elementwise_kernel_manual_unrollILi128ELi4EZNS0_15gpu_kernel_implIZZZNS0_12_GLOBAL__N_121bessel_y1_kernel_cudaERNS_18TensorIteratorBaseEENKUlvE_clEvENKUlvE0_clEvEUlfE_EEvS5_RKT_EUlibE0_EEviT1_.num_agpr, 0
	.set _ZN2at6native32elementwise_kernel_manual_unrollILi128ELi4EZNS0_15gpu_kernel_implIZZZNS0_12_GLOBAL__N_121bessel_y1_kernel_cudaERNS_18TensorIteratorBaseEENKUlvE_clEvENKUlvE0_clEvEUlfE_EEvS5_RKT_EUlibE0_EEviT1_.numbered_sgpr, 78
	.set _ZN2at6native32elementwise_kernel_manual_unrollILi128ELi4EZNS0_15gpu_kernel_implIZZZNS0_12_GLOBAL__N_121bessel_y1_kernel_cudaERNS_18TensorIteratorBaseEENKUlvE_clEvENKUlvE0_clEvEUlfE_EEvS5_RKT_EUlibE0_EEviT1_.num_named_barrier, 0
	.set _ZN2at6native32elementwise_kernel_manual_unrollILi128ELi4EZNS0_15gpu_kernel_implIZZZNS0_12_GLOBAL__N_121bessel_y1_kernel_cudaERNS_18TensorIteratorBaseEENKUlvE_clEvENKUlvE0_clEvEUlfE_EEvS5_RKT_EUlibE0_EEviT1_.private_seg_size, 0
	.set _ZN2at6native32elementwise_kernel_manual_unrollILi128ELi4EZNS0_15gpu_kernel_implIZZZNS0_12_GLOBAL__N_121bessel_y1_kernel_cudaERNS_18TensorIteratorBaseEENKUlvE_clEvENKUlvE0_clEvEUlfE_EEvS5_RKT_EUlibE0_EEviT1_.uses_vcc, 1
	.set _ZN2at6native32elementwise_kernel_manual_unrollILi128ELi4EZNS0_15gpu_kernel_implIZZZNS0_12_GLOBAL__N_121bessel_y1_kernel_cudaERNS_18TensorIteratorBaseEENKUlvE_clEvENKUlvE0_clEvEUlfE_EEvS5_RKT_EUlibE0_EEviT1_.uses_flat_scratch, 0
	.set _ZN2at6native32elementwise_kernel_manual_unrollILi128ELi4EZNS0_15gpu_kernel_implIZZZNS0_12_GLOBAL__N_121bessel_y1_kernel_cudaERNS_18TensorIteratorBaseEENKUlvE_clEvENKUlvE0_clEvEUlfE_EEvS5_RKT_EUlibE0_EEviT1_.has_dyn_sized_stack, 0
	.set _ZN2at6native32elementwise_kernel_manual_unrollILi128ELi4EZNS0_15gpu_kernel_implIZZZNS0_12_GLOBAL__N_121bessel_y1_kernel_cudaERNS_18TensorIteratorBaseEENKUlvE_clEvENKUlvE0_clEvEUlfE_EEvS5_RKT_EUlibE0_EEviT1_.has_recursion, 0
	.set _ZN2at6native32elementwise_kernel_manual_unrollILi128ELi4EZNS0_15gpu_kernel_implIZZZNS0_12_GLOBAL__N_121bessel_y1_kernel_cudaERNS_18TensorIteratorBaseEENKUlvE_clEvENKUlvE0_clEvEUlfE_EEvS5_RKT_EUlibE0_EEviT1_.has_indirect_call, 0
	.section	.AMDGPU.csdata,"",@progbits
; Kernel info:
; codeLenInByte = 63172
; TotalNumSgprs: 84
; NumVgprs: 30
; NumAgprs: 0
; TotalNumVgprs: 30
; ScratchSize: 0
; MemoryBound: 1
; FloatMode: 240
; IeeeMode: 1
; LDSByteSize: 0 bytes/workgroup (compile time only)
; SGPRBlocks: 10
; VGPRBlocks: 3
; NumSGPRsForWavesPerEU: 84
; NumVGPRsForWavesPerEU: 30
; AccumOffset: 32
; Occupancy: 8
; WaveLimiterHint : 1
; COMPUTE_PGM_RSRC2:SCRATCH_EN: 0
; COMPUTE_PGM_RSRC2:USER_SGPR: 2
; COMPUTE_PGM_RSRC2:TRAP_HANDLER: 0
; COMPUTE_PGM_RSRC2:TGID_X_EN: 1
; COMPUTE_PGM_RSRC2:TGID_Y_EN: 0
; COMPUTE_PGM_RSRC2:TGID_Z_EN: 0
; COMPUTE_PGM_RSRC2:TIDIG_COMP_CNT: 0
; COMPUTE_PGM_RSRC3_GFX90A:ACCUM_OFFSET: 7
; COMPUTE_PGM_RSRC3_GFX90A:TG_SPLIT: 0
	.text
	.p2alignl 6, 3212836864
	.fill 256, 4, 3212836864
	.section	.AMDGPU.gpr_maximums,"",@progbits
	.set amdgpu.max_num_vgpr, 68
	.set amdgpu.max_num_agpr, 0
	.set amdgpu.max_num_sgpr, 41
	.text
	.type	__hip_cuid_411c66ccfe9e9104,@object ; @__hip_cuid_411c66ccfe9e9104
	.section	.bss,"aw",@nobits
	.globl	__hip_cuid_411c66ccfe9e9104
__hip_cuid_411c66ccfe9e9104:
	.byte	0                               ; 0x0
	.size	__hip_cuid_411c66ccfe9e9104, 1

	.ident	"AMD clang version 22.0.0git (https://github.com/RadeonOpenCompute/llvm-project roc-7.2.4 26084 f58b06dce1f9c15707c5f808fd002e18c2accf7e)"
	.section	".note.GNU-stack","",@progbits
	.addrsig
	.addrsig_sym __hip_cuid_411c66ccfe9e9104
	.amdgpu_metadata
---
amdhsa.kernels:
  - .agpr_count:     0
    .args:
      - .offset:         0
        .size:           4
        .value_kind:     by_value
      - .offset:         4
        .size:           1
        .value_kind:     by_value
      - .offset:         8
        .size:           16
        .value_kind:     by_value
    .group_segment_fixed_size: 0
    .kernarg_segment_align: 8
    .kernarg_segment_size: 24
    .language:       OpenCL C
    .language_version:
      - 2
      - 0
    .max_flat_workgroup_size: 256
    .name:           _ZN2at6native29vectorized_elementwise_kernelILi16EZZZNS0_12_GLOBAL__N_121bessel_y1_kernel_cudaERNS_18TensorIteratorBaseEENKUlvE_clEvENKUlvE_clEvEUldE_St5arrayIPcLm2EEEEviT0_T1_
    .private_segment_fixed_size: 0
    .sgpr_count:     47
    .sgpr_spill_count: 0
    .symbol:         _ZN2at6native29vectorized_elementwise_kernelILi16EZZZNS0_12_GLOBAL__N_121bessel_y1_kernel_cudaERNS_18TensorIteratorBaseEENKUlvE_clEvENKUlvE_clEvEUldE_St5arrayIPcLm2EEEEviT0_T1_.kd
    .uniform_work_group_size: 1
    .uses_dynamic_stack: false
    .vgpr_count:     68
    .vgpr_spill_count: 0
    .wavefront_size: 64
  - .agpr_count:     0
    .args:
      - .offset:         0
        .size:           4
        .value_kind:     by_value
      - .offset:         4
        .size:           1
        .value_kind:     by_value
      - .offset:         8
        .size:           16
        .value_kind:     by_value
    .group_segment_fixed_size: 0
    .kernarg_segment_align: 8
    .kernarg_segment_size: 24
    .language:       OpenCL C
    .language_version:
      - 2
      - 0
    .max_flat_workgroup_size: 256
    .name:           _ZN2at6native29vectorized_elementwise_kernelILi8EZZZNS0_12_GLOBAL__N_121bessel_y1_kernel_cudaERNS_18TensorIteratorBaseEENKUlvE_clEvENKUlvE_clEvEUldE_St5arrayIPcLm2EEEEviT0_T1_
    .private_segment_fixed_size: 0
    .sgpr_count:     47
    .sgpr_spill_count: 0
    .symbol:         _ZN2at6native29vectorized_elementwise_kernelILi8EZZZNS0_12_GLOBAL__N_121bessel_y1_kernel_cudaERNS_18TensorIteratorBaseEENKUlvE_clEvENKUlvE_clEvEUldE_St5arrayIPcLm2EEEEviT0_T1_.kd
    .uniform_work_group_size: 1
    .uses_dynamic_stack: false
    .vgpr_count:     68
    .vgpr_spill_count: 0
    .wavefront_size: 64
  - .agpr_count:     0
    .args:
      - .offset:         0
        .size:           4
        .value_kind:     by_value
      - .offset:         4
        .size:           1
        .value_kind:     by_value
      - .offset:         8
        .size:           16
        .value_kind:     by_value
    .group_segment_fixed_size: 0
    .kernarg_segment_align: 8
    .kernarg_segment_size: 24
    .language:       OpenCL C
    .language_version:
      - 2
      - 0
    .max_flat_workgroup_size: 256
    .name:           _ZN2at6native29vectorized_elementwise_kernelILi4EZZZNS0_12_GLOBAL__N_121bessel_y1_kernel_cudaERNS_18TensorIteratorBaseEENKUlvE_clEvENKUlvE_clEvEUldE_St5arrayIPcLm2EEEEviT0_T1_
    .private_segment_fixed_size: 0
    .sgpr_count:     47
    .sgpr_spill_count: 0
    .symbol:         _ZN2at6native29vectorized_elementwise_kernelILi4EZZZNS0_12_GLOBAL__N_121bessel_y1_kernel_cudaERNS_18TensorIteratorBaseEENKUlvE_clEvENKUlvE_clEvEUldE_St5arrayIPcLm2EEEEviT0_T1_.kd
    .uniform_work_group_size: 1
    .uses_dynamic_stack: false
    .vgpr_count:     68
    .vgpr_spill_count: 0
    .wavefront_size: 64
  - .agpr_count:     0
    .args:
      - .offset:         0
        .size:           4
        .value_kind:     by_value
      - .offset:         4
        .size:           1
        .value_kind:     by_value
      - .offset:         8
        .size:           16
        .value_kind:     by_value
    .group_segment_fixed_size: 0
    .kernarg_segment_align: 8
    .kernarg_segment_size: 24
    .language:       OpenCL C
    .language_version:
      - 2
      - 0
    .max_flat_workgroup_size: 256
    .name:           _ZN2at6native29vectorized_elementwise_kernelILi2EZZZNS0_12_GLOBAL__N_121bessel_y1_kernel_cudaERNS_18TensorIteratorBaseEENKUlvE_clEvENKUlvE_clEvEUldE_St5arrayIPcLm2EEEEviT0_T1_
    .private_segment_fixed_size: 0
    .sgpr_count:     47
    .sgpr_spill_count: 0
    .symbol:         _ZN2at6native29vectorized_elementwise_kernelILi2EZZZNS0_12_GLOBAL__N_121bessel_y1_kernel_cudaERNS_18TensorIteratorBaseEENKUlvE_clEvENKUlvE_clEvEUldE_St5arrayIPcLm2EEEEviT0_T1_.kd
    .uniform_work_group_size: 1
    .uses_dynamic_stack: false
    .vgpr_count:     68
    .vgpr_spill_count: 0
    .wavefront_size: 64
  - .agpr_count:     0
    .args:
      - .offset:         0
        .size:           4
        .value_kind:     by_value
      - .offset:         4
        .size:           1
        .value_kind:     by_value
      - .offset:         8
        .size:           16
        .value_kind:     by_value
      - .offset:         24
        .size:           1
        .value_kind:     by_value
      - .offset:         25
        .size:           1
        .value_kind:     by_value
      - .offset:         26
        .size:           1
        .value_kind:     by_value
      - .offset:         27
        .size:           1
        .value_kind:     by_value
    .group_segment_fixed_size: 0
    .kernarg_segment_align: 8
    .kernarg_segment_size: 28
    .language:       OpenCL C
    .language_version:
      - 2
      - 0
    .max_flat_workgroup_size: 256
    .name:           _ZN2at6native27unrolled_elementwise_kernelIZZZNS0_12_GLOBAL__N_121bessel_y1_kernel_cudaERNS_18TensorIteratorBaseEENKUlvE_clEvENKUlvE_clEvEUldE_St5arrayIPcLm2EELi4E23TrivialOffsetCalculatorILi1EjESC_NS0_6memory15LoadWithoutCastENSD_16StoreWithoutCastEEEviT_T0_T2_T3_T4_T5_
    .private_segment_fixed_size: 0
    .sgpr_count:     47
    .sgpr_spill_count: 0
    .symbol:         _ZN2at6native27unrolled_elementwise_kernelIZZZNS0_12_GLOBAL__N_121bessel_y1_kernel_cudaERNS_18TensorIteratorBaseEENKUlvE_clEvENKUlvE_clEvEUldE_St5arrayIPcLm2EELi4E23TrivialOffsetCalculatorILi1EjESC_NS0_6memory15LoadWithoutCastENSD_16StoreWithoutCastEEEviT_T0_T2_T3_T4_T5_.kd
    .uniform_work_group_size: 1
    .uses_dynamic_stack: false
    .vgpr_count:     68
    .vgpr_spill_count: 0
    .wavefront_size: 64
  - .agpr_count:     0
    .args:
      - .offset:         0
        .size:           4
        .value_kind:     by_value
      - .offset:         8
        .size:           352
        .value_kind:     by_value
    .group_segment_fixed_size: 0
    .kernarg_segment_align: 8
    .kernarg_segment_size: 360
    .language:       OpenCL C
    .language_version:
      - 2
      - 0
    .max_flat_workgroup_size: 128
    .name:           _ZN2at6native32elementwise_kernel_manual_unrollILi128ELi4EZNS0_22gpu_kernel_impl_nocastIZZZNS0_12_GLOBAL__N_121bessel_y1_kernel_cudaERNS_18TensorIteratorBaseEENKUlvE_clEvENKUlvE_clEvEUldE_EEvS5_RKT_EUlibE_EEviT1_
    .private_segment_fixed_size: 0
    .sgpr_count:     66
    .sgpr_spill_count: 0
    .symbol:         _ZN2at6native32elementwise_kernel_manual_unrollILi128ELi4EZNS0_22gpu_kernel_impl_nocastIZZZNS0_12_GLOBAL__N_121bessel_y1_kernel_cudaERNS_18TensorIteratorBaseEENKUlvE_clEvENKUlvE_clEvEUldE_EEvS5_RKT_EUlibE_EEviT1_.kd
    .uniform_work_group_size: 1
    .uses_dynamic_stack: false
    .vgpr_count:     48
    .vgpr_spill_count: 0
    .wavefront_size: 64
  - .agpr_count:     0
    .args:
      - .offset:         0
        .size:           4
        .value_kind:     by_value
      - .offset:         8
        .size:           32
        .value_kind:     by_value
    .group_segment_fixed_size: 0
    .kernarg_segment_align: 8
    .kernarg_segment_size: 40
    .language:       OpenCL C
    .language_version:
      - 2
      - 0
    .max_flat_workgroup_size: 128
    .name:           _ZN2at6native32elementwise_kernel_manual_unrollILi128ELi4EZNS0_15gpu_kernel_implIZZZNS0_12_GLOBAL__N_121bessel_y1_kernel_cudaERNS_18TensorIteratorBaseEENKUlvE_clEvENKUlvE_clEvEUldE_EEvS5_RKT_EUlibE_EEviT1_
    .private_segment_fixed_size: 0
    .sgpr_count:     62
    .sgpr_spill_count: 0
    .symbol:         _ZN2at6native32elementwise_kernel_manual_unrollILi128ELi4EZNS0_15gpu_kernel_implIZZZNS0_12_GLOBAL__N_121bessel_y1_kernel_cudaERNS_18TensorIteratorBaseEENKUlvE_clEvENKUlvE_clEvEUldE_EEvS5_RKT_EUlibE_EEviT1_.kd
    .uniform_work_group_size: 1
    .uses_dynamic_stack: false
    .vgpr_count:     45
    .vgpr_spill_count: 0
    .wavefront_size: 64
  - .agpr_count:     0
    .args:
      - .offset:         0
        .size:           4
        .value_kind:     by_value
      - .offset:         8
        .size:           352
        .value_kind:     by_value
    .group_segment_fixed_size: 0
    .kernarg_segment_align: 8
    .kernarg_segment_size: 360
    .language:       OpenCL C
    .language_version:
      - 2
      - 0
    .max_flat_workgroup_size: 128
    .name:           _ZN2at6native32elementwise_kernel_manual_unrollILi128ELi4EZNS0_15gpu_kernel_implIZZZNS0_12_GLOBAL__N_121bessel_y1_kernel_cudaERNS_18TensorIteratorBaseEENKUlvE_clEvENKUlvE_clEvEUldE_EEvS5_RKT_EUlibE0_EEviT1_
    .private_segment_fixed_size: 0
    .sgpr_count:     85
    .sgpr_spill_count: 0
    .symbol:         _ZN2at6native32elementwise_kernel_manual_unrollILi128ELi4EZNS0_15gpu_kernel_implIZZZNS0_12_GLOBAL__N_121bessel_y1_kernel_cudaERNS_18TensorIteratorBaseEENKUlvE_clEvENKUlvE_clEvEUldE_EEvS5_RKT_EUlibE0_EEviT1_.kd
    .uniform_work_group_size: 1
    .uses_dynamic_stack: false
    .vgpr_count:     54
    .vgpr_spill_count: 0
    .wavefront_size: 64
  - .agpr_count:     0
    .args:
      - .offset:         0
        .size:           4
        .value_kind:     by_value
      - .offset:         4
        .size:           1
        .value_kind:     by_value
      - .offset:         8
        .size:           16
        .value_kind:     by_value
    .group_segment_fixed_size: 0
    .kernarg_segment_align: 8
    .kernarg_segment_size: 24
    .language:       OpenCL C
    .language_version:
      - 2
      - 0
    .max_flat_workgroup_size: 256
    .name:           _ZN2at6native29vectorized_elementwise_kernelILi16EZZZNS0_12_GLOBAL__N_121bessel_y1_kernel_cudaERNS_18TensorIteratorBaseEENKUlvE_clEvENKUlvE0_clEvEUlfE_St5arrayIPcLm2EEEEviT0_T1_
    .private_segment_fixed_size: 0
    .sgpr_count:     39
    .sgpr_spill_count: 0
    .symbol:         _ZN2at6native29vectorized_elementwise_kernelILi16EZZZNS0_12_GLOBAL__N_121bessel_y1_kernel_cudaERNS_18TensorIteratorBaseEENKUlvE_clEvENKUlvE0_clEvEUlfE_St5arrayIPcLm2EEEEviT0_T1_.kd
    .uniform_work_group_size: 1
    .uses_dynamic_stack: false
    .vgpr_count:     32
    .vgpr_spill_count: 0
    .wavefront_size: 64
  - .agpr_count:     0
    .args:
      - .offset:         0
        .size:           4
        .value_kind:     by_value
      - .offset:         4
        .size:           1
        .value_kind:     by_value
      - .offset:         8
        .size:           16
        .value_kind:     by_value
    .group_segment_fixed_size: 0
    .kernarg_segment_align: 8
    .kernarg_segment_size: 24
    .language:       OpenCL C
    .language_version:
      - 2
      - 0
    .max_flat_workgroup_size: 256
    .name:           _ZN2at6native29vectorized_elementwise_kernelILi8EZZZNS0_12_GLOBAL__N_121bessel_y1_kernel_cudaERNS_18TensorIteratorBaseEENKUlvE_clEvENKUlvE0_clEvEUlfE_St5arrayIPcLm2EEEEviT0_T1_
    .private_segment_fixed_size: 0
    .sgpr_count:     39
    .sgpr_spill_count: 0
    .symbol:         _ZN2at6native29vectorized_elementwise_kernelILi8EZZZNS0_12_GLOBAL__N_121bessel_y1_kernel_cudaERNS_18TensorIteratorBaseEENKUlvE_clEvENKUlvE0_clEvEUlfE_St5arrayIPcLm2EEEEviT0_T1_.kd
    .uniform_work_group_size: 1
    .uses_dynamic_stack: false
    .vgpr_count:     32
    .vgpr_spill_count: 0
    .wavefront_size: 64
  - .agpr_count:     0
    .args:
      - .offset:         0
        .size:           4
        .value_kind:     by_value
      - .offset:         4
        .size:           1
        .value_kind:     by_value
      - .offset:         8
        .size:           16
        .value_kind:     by_value
    .group_segment_fixed_size: 0
    .kernarg_segment_align: 8
    .kernarg_segment_size: 24
    .language:       OpenCL C
    .language_version:
      - 2
      - 0
    .max_flat_workgroup_size: 256
    .name:           _ZN2at6native29vectorized_elementwise_kernelILi4EZZZNS0_12_GLOBAL__N_121bessel_y1_kernel_cudaERNS_18TensorIteratorBaseEENKUlvE_clEvENKUlvE0_clEvEUlfE_St5arrayIPcLm2EEEEviT0_T1_
    .private_segment_fixed_size: 0
    .sgpr_count:     39
    .sgpr_spill_count: 0
    .symbol:         _ZN2at6native29vectorized_elementwise_kernelILi4EZZZNS0_12_GLOBAL__N_121bessel_y1_kernel_cudaERNS_18TensorIteratorBaseEENKUlvE_clEvENKUlvE0_clEvEUlfE_St5arrayIPcLm2EEEEviT0_T1_.kd
    .uniform_work_group_size: 1
    .uses_dynamic_stack: false
    .vgpr_count:     32
    .vgpr_spill_count: 0
    .wavefront_size: 64
  - .agpr_count:     0
    .args:
      - .offset:         0
        .size:           4
        .value_kind:     by_value
      - .offset:         4
        .size:           1
        .value_kind:     by_value
      - .offset:         8
        .size:           16
        .value_kind:     by_value
    .group_segment_fixed_size: 0
    .kernarg_segment_align: 8
    .kernarg_segment_size: 24
    .language:       OpenCL C
    .language_version:
      - 2
      - 0
    .max_flat_workgroup_size: 256
    .name:           _ZN2at6native29vectorized_elementwise_kernelILi2EZZZNS0_12_GLOBAL__N_121bessel_y1_kernel_cudaERNS_18TensorIteratorBaseEENKUlvE_clEvENKUlvE0_clEvEUlfE_St5arrayIPcLm2EEEEviT0_T1_
    .private_segment_fixed_size: 0
    .sgpr_count:     39
    .sgpr_spill_count: 0
    .symbol:         _ZN2at6native29vectorized_elementwise_kernelILi2EZZZNS0_12_GLOBAL__N_121bessel_y1_kernel_cudaERNS_18TensorIteratorBaseEENKUlvE_clEvENKUlvE0_clEvEUlfE_St5arrayIPcLm2EEEEviT0_T1_.kd
    .uniform_work_group_size: 1
    .uses_dynamic_stack: false
    .vgpr_count:     32
    .vgpr_spill_count: 0
    .wavefront_size: 64
  - .agpr_count:     0
    .args:
      - .offset:         0
        .size:           4
        .value_kind:     by_value
      - .offset:         4
        .size:           1
        .value_kind:     by_value
      - .offset:         8
        .size:           16
        .value_kind:     by_value
      - .offset:         24
        .size:           1
        .value_kind:     by_value
      - .offset:         25
        .size:           1
        .value_kind:     by_value
      - .offset:         26
        .size:           1
        .value_kind:     by_value
      - .offset:         27
        .size:           1
        .value_kind:     by_value
    .group_segment_fixed_size: 0
    .kernarg_segment_align: 8
    .kernarg_segment_size: 28
    .language:       OpenCL C
    .language_version:
      - 2
      - 0
    .max_flat_workgroup_size: 256
    .name:           _ZN2at6native27unrolled_elementwise_kernelIZZZNS0_12_GLOBAL__N_121bessel_y1_kernel_cudaERNS_18TensorIteratorBaseEENKUlvE_clEvENKUlvE0_clEvEUlfE_St5arrayIPcLm2EELi4E23TrivialOffsetCalculatorILi1EjESC_NS0_6memory15LoadWithoutCastENSD_16StoreWithoutCastEEEviT_T0_T2_T3_T4_T5_
    .private_segment_fixed_size: 0
    .sgpr_count:     39
    .sgpr_spill_count: 0
    .symbol:         _ZN2at6native27unrolled_elementwise_kernelIZZZNS0_12_GLOBAL__N_121bessel_y1_kernel_cudaERNS_18TensorIteratorBaseEENKUlvE_clEvENKUlvE0_clEvEUlfE_St5arrayIPcLm2EELi4E23TrivialOffsetCalculatorILi1EjESC_NS0_6memory15LoadWithoutCastENSD_16StoreWithoutCastEEEviT_T0_T2_T3_T4_T5_.kd
    .uniform_work_group_size: 1
    .uses_dynamic_stack: false
    .vgpr_count:     32
    .vgpr_spill_count: 0
    .wavefront_size: 64
  - .agpr_count:     0
    .args:
      - .offset:         0
        .size:           4
        .value_kind:     by_value
      - .offset:         8
        .size:           352
        .value_kind:     by_value
    .group_segment_fixed_size: 0
    .kernarg_segment_align: 8
    .kernarg_segment_size: 360
    .language:       OpenCL C
    .language_version:
      - 2
      - 0
    .max_flat_workgroup_size: 128
    .name:           _ZN2at6native32elementwise_kernel_manual_unrollILi128ELi4EZNS0_22gpu_kernel_impl_nocastIZZZNS0_12_GLOBAL__N_121bessel_y1_kernel_cudaERNS_18TensorIteratorBaseEENKUlvE_clEvENKUlvE0_clEvEUlfE_EEvS5_RKT_EUlibE_EEviT1_
    .private_segment_fixed_size: 0
    .sgpr_count:     66
    .sgpr_spill_count: 0
    .symbol:         _ZN2at6native32elementwise_kernel_manual_unrollILi128ELi4EZNS0_22gpu_kernel_impl_nocastIZZZNS0_12_GLOBAL__N_121bessel_y1_kernel_cudaERNS_18TensorIteratorBaseEENKUlvE_clEvENKUlvE0_clEvEUlfE_EEvS5_RKT_EUlibE_EEviT1_.kd
    .uniform_work_group_size: 1
    .uses_dynamic_stack: false
    .vgpr_count:     28
    .vgpr_spill_count: 0
    .wavefront_size: 64
  - .agpr_count:     0
    .args:
      - .offset:         0
        .size:           4
        .value_kind:     by_value
      - .offset:         8
        .size:           32
        .value_kind:     by_value
    .group_segment_fixed_size: 0
    .kernarg_segment_align: 8
    .kernarg_segment_size: 40
    .language:       OpenCL C
    .language_version:
      - 2
      - 0
    .max_flat_workgroup_size: 128
    .name:           _ZN2at6native32elementwise_kernel_manual_unrollILi128ELi4EZNS0_15gpu_kernel_implIZZZNS0_12_GLOBAL__N_121bessel_y1_kernel_cudaERNS_18TensorIteratorBaseEENKUlvE_clEvENKUlvE0_clEvEUlfE_EEvS5_RKT_EUlibE_EEviT1_
    .private_segment_fixed_size: 0
    .sgpr_count:     58
    .sgpr_spill_count: 0
    .symbol:         _ZN2at6native32elementwise_kernel_manual_unrollILi128ELi4EZNS0_15gpu_kernel_implIZZZNS0_12_GLOBAL__N_121bessel_y1_kernel_cudaERNS_18TensorIteratorBaseEENKUlvE_clEvENKUlvE0_clEvEUlfE_EEvS5_RKT_EUlibE_EEviT1_.kd
    .uniform_work_group_size: 1
    .uses_dynamic_stack: false
    .vgpr_count:     28
    .vgpr_spill_count: 0
    .wavefront_size: 64
  - .agpr_count:     0
    .args:
      - .offset:         0
        .size:           4
        .value_kind:     by_value
      - .offset:         8
        .size:           352
        .value_kind:     by_value
    .group_segment_fixed_size: 0
    .kernarg_segment_align: 8
    .kernarg_segment_size: 360
    .language:       OpenCL C
    .language_version:
      - 2
      - 0
    .max_flat_workgroup_size: 128
    .name:           _ZN2at6native32elementwise_kernel_manual_unrollILi128ELi4EZNS0_15gpu_kernel_implIZZZNS0_12_GLOBAL__N_121bessel_y1_kernel_cudaERNS_18TensorIteratorBaseEENKUlvE_clEvENKUlvE0_clEvEUlfE_EEvS5_RKT_EUlibE0_EEviT1_
    .private_segment_fixed_size: 0
    .sgpr_count:     84
    .sgpr_spill_count: 0
    .symbol:         _ZN2at6native32elementwise_kernel_manual_unrollILi128ELi4EZNS0_15gpu_kernel_implIZZZNS0_12_GLOBAL__N_121bessel_y1_kernel_cudaERNS_18TensorIteratorBaseEENKUlvE_clEvENKUlvE0_clEvEUlfE_EEvS5_RKT_EUlibE0_EEviT1_.kd
    .uniform_work_group_size: 1
    .uses_dynamic_stack: false
    .vgpr_count:     30
    .vgpr_spill_count: 0
    .wavefront_size: 64
amdhsa.target:   amdgcn-amd-amdhsa--gfx950
amdhsa.version:
  - 1
  - 2
...

	.end_amdgpu_metadata
